;; amdgpu-corpus repo=ROCm/aiter kind=harvested arch=n/a opt=n/a

/root/src/amdgpu-assembly/repos/ROCm__aiter/hsa/gfx942/fmha_v3_fwd/MI300/fwd_hd128_bf16_causal_rtne_group.co:	file format elf64-amdgpu

Disassembly of section .text:

0000000000003300 <_ZN5aiter37fmha_fwd_hd128_bf16_causal_rtne_groupE>:
	s_and_b32 s1, s1, 0xffff                                   // 000000003300: 8601FF01 0000FFFF
	s_load_dwordx2 s[20:21], s[0:1], 0x0                       // 000000003308: C0060500 00000000
	s_load_dwordx2 s[8:9], s[0:1], 0x10                        // 000000003310: C0060200 00000010
	s_load_dwordx2 s[12:13], s[0:1], 0x20                      // 000000003318: C0060300 00000020
	s_load_dwordx2 s[16:17], s[0:1], 0x30                      // 000000003320: C0060400 00000030
	s_load_dwordx2 s[24:25], s[0:1], 0x40                      // 000000003328: C0060600 00000040
	s_load_dword s28, s[0:1], 0x50                             // 000000003330: C0020700 00000050
	s_load_dword s30, s[0:1], 0x60                             // 000000003338: C0020780 00000060
	s_load_dword s62, s[0:1], 0x70                             // 000000003340: C0020F80 00000070
	s_load_dword s31, s[0:1], 0x80                             // 000000003348: C00207C0 00000080
	s_load_dword s32, s[0:1], 0x90                             // 000000003350: C0020800 00000090
	s_load_dword s33, s[0:1], 0xa0                             // 000000003358: C0020840 000000A0
	s_load_dword s46, s[0:1], 0xb0                             // 000000003360: C0020B80 000000B0
	s_load_dword s61, s[0:1], 0xc0                             // 000000003368: C0020F40 000000C0
	s_load_dword s47, s[0:1], 0xd0                             // 000000003370: C0020BC0 000000D0
	s_load_dword s48, s[0:1], 0xe0                             // 000000003378: C0020C00 000000E0
	s_load_dword s34, s[0:1], 0xf0                             // 000000003380: C0020880 000000F0
	s_load_dword s37, s[0:1], 0x100                            // 000000003388: C0020940 00000100
	s_load_dword s7, s[0:1], 0x110                             // 000000003390: C00201C0 00000110
	s_load_dword s96, s[0:1], 0x140                            // 000000003398: C0021800 00000140
	s_load_dword s80, s[0:1], 0x150                            // 0000000033A0: C0021400 00000150
	s_load_dword s81, s[0:1], 0x160                            // 0000000033A8: C0021440 00000160
	s_load_dword s82, s[0:1], 0x170                            // 0000000033B0: C0021480 00000170
	s_load_dword s83, s[0:1], 0x180                            // 0000000033B8: C00214C0 00000180
	s_load_dword s84, s[0:1], 0x190                            // 0000000033C0: C0021500 00000190
	s_load_dword s85, s[0:1], 0x1a0                            // 0000000033C8: C0021540 000001A0
	s_load_dwordx2 s[76:77], s[0:1], 0x1b0                     // 0000000033D0: C0061300 000001B0
	s_load_dwordx2 s[78:79], s[0:1], 0x1c0                     // 0000000033D8: C0061380 000001C0
	s_load_dword s86, s[0:1], 0x1d0                            // 0000000033E0: C0021580 000001D0
	s_load_dwordx2 s[88:89], s[0:1], 0x1e0                     // 0000000033E8: C0061600 000001E0
	s_load_dwordx2 s[90:91], s[0:1], 0x1f0                     // 0000000033F0: C0061680 000001F0
	v_lshrrev_b32_e32 v1, 10, v0                               // 0000000033F8: 2002008A
	v_lshrrev_b32_e32 v2, 10, v1                               // 0000000033FC: 2004028A
	v_and_b32_e32 v2, 0x3ff, v2                                // 000000003400: 260404FF 000003FF
	v_and_b32_e32 v1, 0x3ff, v1                                // 000000003408: 260202FF 000003FF
	v_and_b32_e32 v0, 0x3ff, v0                                // 000000003410: 260000FF 000003FF
	v_lshrrev_b32_e32 v3, 6, v0                                // 000000003418: 20060086
	v_and_b32_e32 v0, 63, v0                                   // 00000000341C: 260000BF
	s_mov_b32 s2, s2                                           // 000000003420: BE820002
	s_mov_b32 s3, s3                                           // 000000003424: BE830003
	s_mov_b32 s4, s4                                           // 000000003428: BE840004
	v_readfirstlane_b32 s5, v3                                 // 00000000342C: 7E0A0503
	s_waitcnt lgkmcnt(0)                                       // 000000003430: BF8CC07F
	s_and_b32 s34, s34, 1                                      // 000000003434: 86228122
	s_nop 1                                                    // 000000003438: BF800001
	s_and_b32 s77, s77, 0xffff                                 // 00000000343C: 864DFF4D 0000FFFF
	s_and_b32 s79, s79, 0xffff                                 // 000000003444: 864FFF4F 0000FFFF
	s_and_b32 s89, s89, 0xffff                                 // 00000000344C: 8659FF59 0000FFFF
	s_and_b32 s91, s91, 0xffff                                 // 000000003454: 865BFF5B 0000FFFF
	s_mul_i32 s40, s3, 4                                       // 00000000345C: 92288403
	s_load_dword s92, s[88:89], s40                            // 000000003460: C000172C 00000028
	s_load_dword s93, s[90:91], s40                            // 000000003468: C000176D 00000028
	s_load_dword s41, s[76:77], s40                            // 000000003470: C0000A66 00000028
	s_load_dword s42, s[78:79], s40                            // 000000003478: C0000AA7 00000028
	s_add_u32 s40, s40, 4                                      // 000000003480: 80288428
	s_load_dword s94, s[76:77], s40                            // 000000003484: C00017A6 00000028
	s_load_dword s95, s[78:79], s40                            // 00000000348C: C00017E7 00000028
	s_waitcnt lgkmcnt(0)                                       // 000000003494: BF8CC07F
	s_sub_u32 s30, s94, s41                                    // 000000003498: 809E295E
	s_sub_u32 s7, s95, s42                                     // 00000000349C: 80872A5F
	s_nop 0                                                    // 0000000034A0: BF800000
	s_lshr_b32 s40, s34, 1                                     // 0000000034A4: 8F288122
	s_and_b32 s40, 3, s40                                      // 0000000034A8: 86282883
	s_cmp_lt_u32 s40, 1                                        // 0000000034AC: BF0A8128
	s_cbranch_scc1 label_0089                                  // 0000000034B0: BF85001C
	s_add_u32 s41, s30, 0xff                                   // 0000000034B4: 8029FF1E 000000FF
	s_lshr_b32 s41, s41, 8                                     // 0000000034BC: 8F298829
	s_add_u32 s41, s41, 1                                      // 0000000034C0: 80298129
	s_lshr_b32 s6, s41, 1                                      // 0000000034C4: 8F068129
	s_cmp_eq_u32 s40, 2                                        // 0000000034C8: BF068228
	s_cbranch_scc1 label_007C                                  // 0000000034CC: BF850008
	s_lshr_b32 s41, s6, 3                                      // 0000000034D0: 8F298306
	s_lshr_b32 s42, s4, 3                                      // 0000000034D4: 8F2A8304
	s_and_b32 s40, s4, 7                                       // 0000000034D8: 86288704
	s_mul_i32 s40, s40, s41                                    // 0000000034DC: 92282928
	s_add_u32 s40, s42, s40                                    // 0000000034E0: 8028282A
	s_cmp_lt_i32 s42, s41                                      // 0000000034E4: BF04292A
	s_cselect_b32 s4, s40, s4                                  // 0000000034E8: 85040428
	s_branch label_0089                                        // 0000000034EC: BF82000D

00000000000034f0 <label_007C>:
	s_and_b32 s40, s2, 7                                       // 0000000034F0: 86288702
	s_mul_i32 s40, s40, s6                                     // 0000000034F4: 92280628
	s_add_u32 s40, s40, s4                                     // 0000000034F8: 80280428
	s_and_b32 s41, s40, 7                                      // 0000000034FC: 86298728
	s_lshr_b32 s4, s40, 3                                      // 000000003500: 8F048328
	s_and_b32 s2, s2, -8                                       // 000000003504: 8602C802
	s_add_u32 s2, s2, s41                                      // 000000003508: 80022902
	s_nop 0                                                    // 00000000350C: BF800000
	s_nop 0                                                    // 000000003510: BF800000
	s_nop 0                                                    // 000000003514: BF800000
	;; [unrolled: 1-line block ×3, first 2 shown]
	s_nop 0                                                    // 00000000351C: BF800000
	s_nop 0                                                    // 000000003520: BF800000

0000000000003524 <label_0089>:
	s_add_i32 s40, s30, 0xff                                   // 000000003524: 8128FF1E 000000FF
	s_lshr_b32 s40, s40, 8                                     // 00000000352C: 8F288828
	s_addk_i32 s40, 0x1                                        // 000000003530: B7280001
	s_lshr_b32 s40, s40, 1                                     // 000000003534: 8F288128
	s_cmp_lt_i32 s4, s40                                       // 000000003538: BF042804
	s_cbranch_scc0 label_13F7                                  // 00000000353C: BF841367
	s_mul_i32 s40, s30, s62                                    // 000000003540: 92283E1E
	s_mov_b32 s10, s40                                         // 000000003544: BE8A0028
	s_mul_i32 s40, s30, s83                                    // 000000003548: 9228531E
	s_mov_b32 s22, s40                                         // 00000000354C: BE960028
	s_mul_i32 s40, s7, s61                                     // 000000003550: 92283D07
	s_mov_b32 s14, s40                                         // 000000003554: BE8E0028
	s_mul_i32 s40, s7, s80                                     // 000000003558: 92285007
	s_mov_b32 s18, s40                                         // 00000000355C: BE920028
	s_mul_i32 s40, s30, 4                                      // 000000003560: 9228841E
	s_mov_b32 s26, s40                                         // 000000003564: BE9A0028
	s_mov_b32 s23, 0x20000                                     // 000000003568: BE9700FF 00020000
	s_mov_b32 s11, 0x20000                                     // 000000003570: BE8B00FF 00020000
	s_mov_b32 s15, 0x20000                                     // 000000003578: BE8F00FF 00020000
	s_mov_b32 s19, 0x20000                                     // 000000003580: BE9300FF 00020000
	s_mov_b32 s27, 0x20000                                     // 000000003588: BE9B00FF 00020000
	s_and_b32 s21, s21, 0xffff                                 // 000000003590: 8615FF15 0000FFFF
	s_and_b32 s9, s9, 0xffff                                   // 000000003598: 8609FF09 0000FFFF
	s_and_b32 s13, s13, 0xffff                                 // 0000000035A0: 860DFF0D 0000FFFF
	s_and_b32 s17, s17, 0xffff                                 // 0000000035A8: 8611FF11 0000FFFF
	s_and_b32 s25, s25, 0xffff                                 // 0000000035B0: 8619FF19 0000FFFF
	s_nop 0                                                    // 0000000035B8: BF800000
	s_nop 0                                                    // 0000000035BC: BF800000
	s_mov_b32 s64, s2                                          // 0000000035C0: BEC00002
	s_mov_b32 s65, s46                                         // 0000000035C4: BEC1002E
	v_cvt_f32_u32_e32 v16, s65                                 // 0000000035C8: 7E200C41
	s_sub_i32 s40, 0, s65                                      // 0000000035CC: 81A84180
	v_rcp_iflag_f32_e32 v16, v16                               // 0000000035D0: 7E204710
	s_nop 0                                                    // 0000000035D4: BF800000
	v_mul_f32_e32 v16, 0x4f7ffffe, v16                         // 0000000035D8: 0A2020FF 4F7FFFFE
	v_cvt_u32_f32_e32 v16, v16                                 // 0000000035E0: 7E200F10
	v_mul_lo_u32 v17, s40, v16                                 // 0000000035E4: D2850011 00022028
	v_mul_hi_u32 v17, v16, v17                                 // 0000000035EC: D2860011 00022310
	v_add_u32_e32 v16, v16, v17                                // 0000000035F4: 68202310
	v_mul_hi_u32 v16, s64, v16                                 // 0000000035F8: D2860010 00022040
	v_mul_lo_u32 v17, v16, s65                                 // 000000003600: D2850011 00008310
	v_sub_u32_e32 v19, s64, v17                                // 000000003608: 6A262240
	v_add_u32_e32 v18, 1, v16                                  // 00000000360C: 68242081
	v_cmp_le_u32_e32 vcc, s65, v19                             // 000000003610: 7D962641
	v_subrev_u32_e32 v17, s65, v19                             // 000000003614: 6C222641
	s_nop 0                                                    // 000000003618: BF800000
	v_cndmask_b32_e32 v16, v16, v18, vcc                       // 00000000361C: 00202510
	v_cndmask_b32_e32 v19, v19, v17, vcc                       // 000000003620: 00262313
	v_add_u32_e32 v17, 1, v16                                  // 000000003624: 68222081
	v_cmp_le_u32_e32 vcc, s65, v19                             // 000000003628: 7D962641
	s_nop 1                                                    // 00000000362C: BF800001
	v_cndmask_b32_e32 v19, v16, v17, vcc                       // 000000003630: 00262310
	s_nop 3                                                    // 000000003634: BF800003
	v_readfirstlane_b32 s66, v19                               // 000000003638: 7E840513
	s_nop 3                                                    // 00000000363C: BF800003
	s_mov_b32 s49, 0x7060302                                   // 000000003640: BEB100FF 07060302
	s_mov_b32 s50, 0x5040100                                   // 000000003648: BEB200FF 05040100
	v_mov_b32_e32 v41, 0xffff0000                              // 000000003650: 7E5202FF FFFF0000
	v_mov_b32_e32 v42, 0x7fff0000                              // 000000003658: 7E5402FF 7FFF0000
	v_mov_b32_e32 v43, 0x7fff                                  // 000000003660: 7E5602FF 00007FFF
	v_lshrrev_b32_e32 v16, 5, v0                               // 000000003668: 20200085
	v_sub_u32_e32 v16, 1, v16                                  // 00000000366C: 6A202081
	v_mul_i32_i24_e32 v32, 0x80, v16                           // 000000003670: 0C4020FF 00000080
	v_and_b32_e32 v16, 31, v0                                  // 000000003678: 2620009F
	v_mul_i32_i24_e32 v16, 4, v16                              // 00000000367C: 0C202084
	v_add_u32_e32 v32, v16, v32                                // 000000003680: 68404110
	s_mov_b32 s60, 0                                           // 000000003684: BEBC0080
	s_mov_b32 s35, 0                                           // 000000003688: BEA30080
	s_mul_i32 s43, 32, s61                                     // 00000000368C: 922B3DA0
	s_mul_i32 s44, 32, s80                                     // 000000003690: 922C50A0
	s_mul_i32 s40, s92, s62                                    // 000000003694: 92283E5C
	s_mul_hi_u32 s42, s92, s62                                 // 000000003698: 962A3E5C
	s_and_b32 s42, s42, 0xffff                                 // 00000000369C: 862AFF2A 0000FFFF
	s_mul_i32 s41, s2, s32                                     // 0000000036A4: 92292002
	s_add_u32 s40, s40, s41                                    // 0000000036A8: 80282928
	s_add_u32 s8, s40, s8                                      // 0000000036AC: 80080828
	s_addc_u32 s9, s42, s9                                     // 0000000036B0: 8209092A
	s_mul_i32 s40, s92, s83                                    // 0000000036B4: 9228535C
	s_mul_hi_u32 s42, s92, s83                                 // 0000000036B8: 962A535C
	s_and_b32 s42, s42, 0xffff                                 // 0000000036BC: 862AFF2A 0000FFFF
	s_mul_i32 s41, s2, s84                                     // 0000000036C4: 92295402
	s_add_u32 s40, s40, s41                                    // 0000000036C8: 80282928
	s_add_u32 s20, s40, s20                                    // 0000000036CC: 80141428
	s_addc_u32 s21, s42, s21                                   // 0000000036D0: 8215152A
	s_mul_i32 s40, s2, s86                                     // 0000000036D4: 92285602
	s_mul_i32 s41, s92, 4                                      // 0000000036D8: 9229845C
	s_add_i32 s40, s40, s41                                    // 0000000036DC: 81282928
	s_add_u32 s24, s40, s24                                    // 0000000036E0: 80181828
	s_addc_u32 s25, 0, s25                                     // 0000000036E4: 82191980
	s_mul_i32 s40, s93, s61                                    // 0000000036E8: 92283D5D
	s_mul_hi_u32 s42, s93, s61                                 // 0000000036EC: 962A3D5D
	s_and_b32 s42, s42, 0xffff                                 // 0000000036F0: 862AFF2A 0000FFFF
	s_mul_i32 s41, s66, s47                                    // 0000000036F8: 92292F42
	s_add_u32 s40, s40, s41                                    // 0000000036FC: 80282928
	s_add_u32 s12, s40, s12                                    // 000000003700: 800C0C28
	s_addc_u32 s13, s42, s13                                   // 000000003704: 820D0D2A
	s_mul_i32 s40, s93, s80                                    // 000000003708: 9228505D
	s_mul_hi_u32 s42, s93, s80                                 // 00000000370C: 962A505D
	s_and_b32 s42, s42, 0xffff                                 // 000000003710: 862AFF2A 0000FFFF
	s_mul_i32 s41, s66, s81                                    // 000000003718: 92295142
	s_add_u32 s40, s40, s41                                    // 00000000371C: 80282928
	s_add_u32 s16, s40, s16                                    // 000000003720: 80101028
	s_addc_u32 s17, s42, s17                                   // 000000003724: 8211112A
	s_mov_b32 s52, 0                                           // 000000003728: BEB40080
	s_mov_b32 s53, 32                                          // 00000000372C: BEB500A0
	s_mov_b32 s36, 0                                           // 000000003730: BEA40080
	s_mov_b32 s29, 0x3fb8aa3b                                  // 000000003734: BE9D00FF 3FB8AA3B
	v_mov_b32_e32 v31, 0xff800000                              // 00000000373C: 7E3E02FF FF800000
	s_mov_b32 s59, 0                                           // 000000003744: BEBB0080
	s_lshr_b32 s54, s7, 5                                      // 000000003748: 8F368507
	s_lshl_b32 s54, s54, 5                                     // 00000000374C: 8E368536
	v_lshrrev_b32_e32 v16, 5, v0                               // 000000003750: 20200085
	v_mul_i32_i24_e32 v30, 4, v16                              // 000000003754: 0C3C2084

0000000000003758 <label_0116>:
	s_add_u32 s38, s4, 1                                       // 000000003758: 80268104
	s_lshl_b32 s38, s38, 8                                     // 00000000375C: 8E268826
	s_lshl_b32 s51, s4, 8                                      // 000000003760: 8E338804
	s_sub_i32 s40, s7, s30                                     // 000000003764: 81A81E07
	s_add_i32 s51, s51, s40                                    // 000000003768: 81332833
	s_ashr_i32 s51, s51, 5                                     // 00000000376C: 90338533
	s_lshl_b32 s51, s51, 5                                     // 000000003770: 8E338533
	s_add_i32 s38, s38, s40                                    // 000000003774: 81262826
	s_cmp_lt_i32 s38, s7                                       // 000000003778: BF040726
	s_cselect_b32 s38, s38, s7                                 // 00000000377C: 85260726
	s_cmp_lt_i32 s38, 32                                       // 000000003780: BF04A026
	s_cselect_b32 s38, 32, s38                                 // 000000003784: 852626A0
	s_nop 0                                                    // 000000003788: BF800000
	s_nop 0                                                    // 00000000378C: BF800000
	s_mul_i32 s40, s5, 32                                      // 000000003790: 9228A005
	v_lshrrev_b32_e32 v16, 5, v0                               // 000000003794: 20200085
	v_mul_i32_i24_e32 v16, 4, v16                              // 000000003798: 0C202084
	v_and_b32_e32 v29, 31, v0                                  // 00000000379C: 263A009F
	v_sub_i32 v29, v29, v16                                    // 0000000037A0: D29D001D 0002211D
	s_nop 0                                                    // 0000000037A8: BF800000
	v_add_i32 v29, v29, s40                                    // 0000000037AC: D29C001D 0000511D
	s_mov_b32 s39, 0                                           // 0000000037B4: BEA70080
	v_mov_b32_e32 v17, s29                                     // 0000000037B8: 7E22021D
	v_mov_b32_e32 v16, s28                                     // 0000000037BC: 7E20021C
	v_mul_f32_e32 v16, s29, v16                                // 0000000037C0: 0A20201D
	v_rcp_f32_e32 v17, v17                                     // 0000000037C4: 7E224511
	v_mov_b32_e32 v22, 0                                       // 0000000037C8: 7E2C0280
	v_mov_b32_e32 v28, 0xff7fffff                              // 0000000037CC: 7E3802FF FF7FFFFF
	v_mov_b32_e32 v20, 0                                       // 0000000037D4: 7E280280
	v_mov_b32_e32 v22, 0                                       // 0000000037D8: 7E2C0280
	v_readfirstlane_b32 s56, v16                               // 0000000037DC: 7E700510
	v_readfirstlane_b32 s45, v17                               // 0000000037E0: 7E5A0511
	v_rcp_f32_e32 v16, v16                                     // 0000000037E4: 7E204510
	s_nop 1                                                    // 0000000037E8: BF800001
	v_mul_f32_e32 v16, v28, v16                                // 0000000037EC: 0A20211C
	v_max_f32_e32 v28, v28, v16                                // 0000000037F0: 1638211C
	s_mul_i32 s63, s4, s31                                     // 0000000037F4: 923F1F04
	v_lshlrev_b32_e32 v8, 2, v0                                // 0000000037F8: 24100082
	s_mul_i32 s40, s5, s62                                     // 0000000037FC: 92283E05
	v_add_u32_e32 v8, s40, v8                                  // 000000003800: 68101028
	s_mul_i32 s41, 8, s62                                      // 000000003804: 92293E88
	v_add_u32_e32 v9, s41, v8                                  // 000000003808: 68121029
	v_add_u32_e32 v10, s41, v9                                 // 00000000380C: 68141229
	v_add_u32_e32 v11, s41, v10                                // 000000003810: 68161429
	v_add_u32_e32 v8, s63, v8                                  // 000000003814: 6810103F
	v_add_u32_e32 v9, s63, v9                                  // 000000003818: 6812123F
	v_add_u32_e32 v10, s63, v10                                // 00000000381C: 6814143F
	v_add_u32_e32 v11, s63, v11                                // 000000003820: 6816163F
	s_mul_i32 s40, s5, 0x110                                   // 000000003824: 9228FF05 00000110
	s_add_u32 s58, 0x4400, s40                                 // 00000000382C: 803A28FF 00004400
	s_mov_b32 s57, s56                                         // 000000003834: BEB90038
	s_mov_b32 s40, 0                                           // 000000003838: BEA80080
	s_add_u32 m0, s40, s58                                     // 00000000383C: 807C3A28
	s_mul_i32 s40, 0, s62                                      // 000000003840: 92283E80
	v_add_u32_e32 v4, s40, v8                                  // 000000003844: 68081028
	v_add_u32_e32 v5, s40, v9                                  // 000000003848: 680A1228
	v_add_u32_e32 v6, s40, v10                                 // 00000000384C: 680C1428
	v_add_u32_e32 v7, s40, v11                                 // 000000003850: 680E1628
	buffer_load_dword v4, s[8:11], s59 offen lds               // 000000003854: E0511000 3B020004
	s_add_u32 m0, 0x880, m0                                    // 00000000385C: 807C7CFF 00000880
	buffer_load_dword v5, s[8:11], s59 offen lds               // 000000003864: E0511000 3B020005
	s_add_u32 m0, 0x880, m0                                    // 00000000386C: 807C7CFF 00000880
	buffer_load_dword v6, s[8:11], s59 offen lds               // 000000003874: E0511000 3B020006
	s_add_u32 m0, 0x880, m0                                    // 00000000387C: 807C7CFF 00000880
	buffer_load_dword v7, s[8:11], s59 offen lds               // 000000003884: E0511000 3B020007
	s_add_u32 m0, 0x880, m0                                    // 00000000388C: 807C7CFF 00000880
	s_mov_b32 s40, 0x2200                                      // 000000003894: BEA800FF 00002200
	s_add_u32 m0, s40, s58                                     // 00000000389C: 807C3A28
	s_mul_i32 s40, 32, s62                                     // 0000000038A0: 92283EA0
	v_add_u32_e32 v4, s40, v8                                  // 0000000038A4: 68081028
	v_add_u32_e32 v5, s40, v9                                  // 0000000038A8: 680A1228
	v_add_u32_e32 v6, s40, v10                                 // 0000000038AC: 680C1428
	v_add_u32_e32 v7, s40, v11                                 // 0000000038B0: 680E1628
	buffer_load_dword v4, s[8:11], s59 offen lds               // 0000000038B4: E0511000 3B020004
	s_add_u32 m0, 0x880, m0                                    // 0000000038BC: 807C7CFF 00000880
	buffer_load_dword v5, s[8:11], s59 offen lds               // 0000000038C4: E0511000 3B020005
	s_add_u32 m0, 0x880, m0                                    // 0000000038CC: 807C7CFF 00000880
	buffer_load_dword v6, s[8:11], s59 offen lds               // 0000000038D4: E0511000 3B020006
	s_add_u32 m0, 0x880, m0                                    // 0000000038DC: 807C7CFF 00000880
	buffer_load_dword v7, s[8:11], s59 offen lds               // 0000000038E4: E0511000 3B020007
	s_add_u32 m0, 0x880, m0                                    // 0000000038EC: 807C7CFF 00000880
	s_mov_b32 s40, 0x4400                                      // 0000000038F4: BEA800FF 00004400
	s_add_u32 m0, s40, s58                                     // 0000000038FC: 807C3A28
	s_mul_i32 s40, 64, s62                                     // 000000003900: 92283EC0
	v_add_u32_e32 v4, s40, v8                                  // 000000003904: 68081028
	v_add_u32_e32 v5, s40, v9                                  // 000000003908: 680A1228
	v_add_u32_e32 v6, s40, v10                                 // 00000000390C: 680C1428
	v_add_u32_e32 v7, s40, v11                                 // 000000003910: 680E1628
	buffer_load_dword v4, s[8:11], s59 offen lds               // 000000003914: E0511000 3B020004
	s_add_u32 m0, 0x880, m0                                    // 00000000391C: 807C7CFF 00000880
	buffer_load_dword v5, s[8:11], s59 offen lds               // 000000003924: E0511000 3B020005
	s_add_u32 m0, 0x880, m0                                    // 00000000392C: 807C7CFF 00000880
	buffer_load_dword v6, s[8:11], s59 offen lds               // 000000003934: E0511000 3B020006
	s_add_u32 m0, 0x880, m0                                    // 00000000393C: 807C7CFF 00000880
	buffer_load_dword v7, s[8:11], s59 offen lds               // 000000003944: E0511000 3B020007
	s_add_u32 m0, 0x880, m0                                    // 00000000394C: 807C7CFF 00000880
	s_mov_b32 s40, 0x6600                                      // 000000003954: BEA800FF 00006600
	s_add_u32 m0, s40, s58                                     // 00000000395C: 807C3A28
	s_mul_i32 s40, 0x60, s62                                   // 000000003960: 92283EFF 00000060
	v_add_u32_e32 v4, s40, v8                                  // 000000003968: 68081028
	v_add_u32_e32 v5, s40, v9                                  // 00000000396C: 680A1228
	v_add_u32_e32 v6, s40, v10                                 // 000000003970: 680C1428
	v_add_u32_e32 v7, s40, v11                                 // 000000003974: 680E1628
	buffer_load_dword v4, s[8:11], s59 offen lds               // 000000003978: E0511000 3B020004
	s_add_u32 m0, 0x880, m0                                    // 000000003980: 807C7CFF 00000880
	buffer_load_dword v5, s[8:11], s59 offen lds               // 000000003988: E0511000 3B020005
	s_add_u32 m0, 0x880, m0                                    // 000000003990: 807C7CFF 00000880
	buffer_load_dword v6, s[8:11], s59 offen lds               // 000000003998: E0511000 3B020006
	s_add_u32 m0, 0x880, m0                                    // 0000000039A0: 807C7CFF 00000880
	buffer_load_dword v7, s[8:11], s59 offen lds               // 0000000039A8: E0511000 3B020007
	s_add_u32 m0, 0x880, m0                                    // 0000000039B0: 807C7CFF 00000880
	v_mov_b32_e32 v96, 0                                       // 0000000039B8: 7EC00280
	v_mov_b32_e32 v97, 0                                       // 0000000039BC: 7EC20280
	v_mov_b32_e32 v98, 0                                       // 0000000039C0: 7EC40280
	v_mov_b32_e32 v99, 0                                       // 0000000039C4: 7EC60280
	v_mov_b32_e32 v100, 0                                      // 0000000039C8: 7EC80280
	v_mov_b32_e32 v101, 0                                      // 0000000039CC: 7ECA0280
	v_mov_b32_e32 v102, 0                                      // 0000000039D0: 7ECC0280
	v_mov_b32_e32 v103, 0                                      // 0000000039D4: 7ECE0280
	v_mov_b32_e32 v104, 0                                      // 0000000039D8: 7ED00280
	v_mov_b32_e32 v105, 0                                      // 0000000039DC: 7ED20280
	v_mov_b32_e32 v106, 0                                      // 0000000039E0: 7ED40280
	v_mov_b32_e32 v107, 0                                      // 0000000039E4: 7ED60280
	v_mov_b32_e32 v108, 0                                      // 0000000039E8: 7ED80280
	v_mov_b32_e32 v109, 0                                      // 0000000039EC: 7EDA0280
	v_mov_b32_e32 v110, 0                                      // 0000000039F0: 7EDC0280
	v_mov_b32_e32 v111, 0                                      // 0000000039F4: 7EDE0280
	v_mov_b32_e32 v112, 0                                      // 0000000039F8: 7EE00280
	v_mov_b32_e32 v113, 0                                      // 0000000039FC: 7EE20280
	v_mov_b32_e32 v114, 0                                      // 000000003A00: 7EE40280
	v_mov_b32_e32 v115, 0                                      // 000000003A04: 7EE60280
	v_mov_b32_e32 v116, 0                                      // 000000003A08: 7EE80280
	v_mov_b32_e32 v117, 0                                      // 000000003A0C: 7EEA0280
	v_mov_b32_e32 v118, 0                                      // 000000003A10: 7EEC0280
	v_mov_b32_e32 v119, 0                                      // 000000003A14: 7EEE0280
	v_mov_b32_e32 v120, 0                                      // 000000003A18: 7EF00280
	v_mov_b32_e32 v121, 0                                      // 000000003A1C: 7EF20280
	v_mov_b32_e32 v122, 0                                      // 000000003A20: 7EF40280
	v_mov_b32_e32 v123, 0                                      // 000000003A24: 7EF60280
	v_mov_b32_e32 v124, 0                                      // 000000003A28: 7EF80280
	v_mov_b32_e32 v125, 0                                      // 000000003A2C: 7EFA0280
	v_mov_b32_e32 v126, 0                                      // 000000003A30: 7EFC0280
	v_mov_b32_e32 v127, 0                                      // 000000003A34: 7EFE0280
	v_lshrrev_b32_e32 v16, 5, v0                               // 000000003A38: 20200085
	v_mul_i32_i24_e32 v17, 4, v16                              // 000000003A3C: 0C222084
	v_and_b32_e32 v16, 31, v0                                  // 000000003A40: 2620009F
	v_mul_i32_i24_e32 v2, 0x44, v16                            // 000000003A44: 0C0420FF 00000044
	v_add_u32_e32 v2, v2, v17                                  // 000000003A4C: 68042302
	v_lshlrev_b32_e32 v2, 2, v2                                // 000000003A50: 24040482
	s_and_b32 s40, 3, s5                                       // 000000003A54: 86280583
	s_mul_i32 s40, s40, 0x2200                                 // 000000003A58: 9228FF28 00002200
	v_add_u32_e32 v2, s40, v2                                  // 000000003A60: 68040428
	s_waitcnt vmcnt(0) expcnt(0) lgkmcnt(0)                    // 000000003A64: BF8C0000
	s_barrier                                                  // 000000003A68: BF8A0000
	s_cmp_lt_i32 s5, 4                                         // 000000003A6C: BF048405
	s_cbranch_scc0 label_01ED                                  // 000000003A70: BF840010
	ds_read_b128 v[160:163], v2 offset:17408                   // 000000003A74: D9FE4400 A0000002
	ds_read_b128 v[164:167], v2 offset:17440                   // 000000003A7C: D9FE4420 A4000002
	ds_read_b128 v[168:171], v2 offset:17472                   // 000000003A84: D9FE4440 A8000002
	ds_read_b128 v[172:175], v2 offset:17504                   // 000000003A8C: D9FE4460 AC000002
	ds_read_b128 v[176:179], v2 offset:17536                   // 000000003A94: D9FE4480 B0000002
	ds_read_b128 v[180:183], v2 offset:17568                   // 000000003A9C: D9FE44A0 B4000002
	ds_read_b128 v[184:187], v2 offset:17600                   // 000000003AA4: D9FE44C0 B8000002
	ds_read_b128 v[188:191], v2 offset:17632                   // 000000003AAC: D9FE44E0 BC000002

0000000000003ab4 <label_01ED>:
	s_waitcnt vmcnt(0) expcnt(0) lgkmcnt(0)                    // 000000003AB4: BF8C0000
	s_barrier                                                  // 000000003AB8: BF8A0000
	s_mov_b32 s40, 0                                           // 000000003ABC: BEA80080
	s_add_u32 m0, s40, s58                                     // 000000003AC0: 807C3A28
	s_mul_i32 s40, 0x80, s62                                   // 000000003AC4: 92283EFF 00000080
	v_add_u32_e32 v4, s40, v8                                  // 000000003ACC: 68081028
	v_add_u32_e32 v5, s40, v9                                  // 000000003AD0: 680A1228
	v_add_u32_e32 v6, s40, v10                                 // 000000003AD4: 680C1428
	v_add_u32_e32 v7, s40, v11                                 // 000000003AD8: 680E1628
	buffer_load_dword v4, s[8:11], s59 offen lds               // 000000003ADC: E0511000 3B020004
	s_add_u32 m0, 0x880, m0                                    // 000000003AE4: 807C7CFF 00000880
	buffer_load_dword v5, s[8:11], s59 offen lds               // 000000003AEC: E0511000 3B020005
	s_add_u32 m0, 0x880, m0                                    // 000000003AF4: 807C7CFF 00000880
	buffer_load_dword v6, s[8:11], s59 offen lds               // 000000003AFC: E0511000 3B020006
	s_add_u32 m0, 0x880, m0                                    // 000000003B04: 807C7CFF 00000880
	buffer_load_dword v7, s[8:11], s59 offen lds               // 000000003B0C: E0511000 3B020007
	s_add_u32 m0, 0x880, m0                                    // 000000003B14: 807C7CFF 00000880
	s_mov_b32 s40, 0x2200                                      // 000000003B1C: BEA800FF 00002200
	s_add_u32 m0, s40, s58                                     // 000000003B24: 807C3A28
	s_mul_i32 s40, 0xa0, s62                                   // 000000003B28: 92283EFF 000000A0
	v_add_u32_e32 v4, s40, v8                                  // 000000003B30: 68081028
	v_add_u32_e32 v5, s40, v9                                  // 000000003B34: 680A1228
	v_add_u32_e32 v6, s40, v10                                 // 000000003B38: 680C1428
	v_add_u32_e32 v7, s40, v11                                 // 000000003B3C: 680E1628
	buffer_load_dword v4, s[8:11], s59 offen lds               // 000000003B40: E0511000 3B020004
	s_add_u32 m0, 0x880, m0                                    // 000000003B48: 807C7CFF 00000880
	buffer_load_dword v5, s[8:11], s59 offen lds               // 000000003B50: E0511000 3B020005
	s_add_u32 m0, 0x880, m0                                    // 000000003B58: 807C7CFF 00000880
	buffer_load_dword v6, s[8:11], s59 offen lds               // 000000003B60: E0511000 3B020006
	s_add_u32 m0, 0x880, m0                                    // 000000003B68: 807C7CFF 00000880
	buffer_load_dword v7, s[8:11], s59 offen lds               // 000000003B70: E0511000 3B020007
	s_add_u32 m0, 0x880, m0                                    // 000000003B78: 807C7CFF 00000880
	s_mov_b32 s40, 0x4400                                      // 000000003B80: BEA800FF 00004400
	s_add_u32 m0, s40, s58                                     // 000000003B88: 807C3A28
	s_mul_i32 s40, 0xc0, s62                                   // 000000003B8C: 92283EFF 000000C0
	v_add_u32_e32 v4, s40, v8                                  // 000000003B94: 68081028
	v_add_u32_e32 v5, s40, v9                                  // 000000003B98: 680A1228
	v_add_u32_e32 v6, s40, v10                                 // 000000003B9C: 680C1428
	v_add_u32_e32 v7, s40, v11                                 // 000000003BA0: 680E1628
	buffer_load_dword v4, s[8:11], s59 offen lds               // 000000003BA4: E0511000 3B020004
	s_add_u32 m0, 0x880, m0                                    // 000000003BAC: 807C7CFF 00000880
	buffer_load_dword v5, s[8:11], s59 offen lds               // 000000003BB4: E0511000 3B020005
	s_add_u32 m0, 0x880, m0                                    // 000000003BBC: 807C7CFF 00000880
	buffer_load_dword v6, s[8:11], s59 offen lds               // 000000003BC4: E0511000 3B020006
	s_add_u32 m0, 0x880, m0                                    // 000000003BCC: 807C7CFF 00000880
	buffer_load_dword v7, s[8:11], s59 offen lds               // 000000003BD4: E0511000 3B020007
	s_add_u32 m0, 0x880, m0                                    // 000000003BDC: 807C7CFF 00000880
	s_mov_b32 s40, 0x6600                                      // 000000003BE4: BEA800FF 00006600
	s_add_u32 m0, s40, s58                                     // 000000003BEC: 807C3A28
	s_mul_i32 s40, 0xe0, s62                                   // 000000003BF0: 92283EFF 000000E0
	v_add_u32_e32 v4, s40, v8                                  // 000000003BF8: 68081028
	v_add_u32_e32 v5, s40, v9                                  // 000000003BFC: 680A1228
	v_add_u32_e32 v6, s40, v10                                 // 000000003C00: 680C1428
	v_add_u32_e32 v7, s40, v11                                 // 000000003C04: 680E1628
	buffer_load_dword v4, s[8:11], s59 offen lds               // 000000003C08: E0511000 3B020004
	s_add_u32 m0, 0x880, m0                                    // 000000003C10: 807C7CFF 00000880
	buffer_load_dword v5, s[8:11], s59 offen lds               // 000000003C18: E0511000 3B020005
	s_add_u32 m0, 0x880, m0                                    // 000000003C20: 807C7CFF 00000880
	buffer_load_dword v6, s[8:11], s59 offen lds               // 000000003C28: E0511000 3B020006
	s_add_u32 m0, 0x880, m0                                    // 000000003C30: 807C7CFF 00000880
	buffer_load_dword v7, s[8:11], s59 offen lds               // 000000003C38: E0511000 3B020007
	s_add_u32 m0, 0x880, m0                                    // 000000003C40: 807C7CFF 00000880
	v_mov_b32_e32 v128, 0                                      // 000000003C48: 7F000280
	v_mov_b32_e32 v129, 0                                      // 000000003C4C: 7F020280
	v_mov_b32_e32 v130, 0                                      // 000000003C50: 7F040280
	v_mov_b32_e32 v131, 0                                      // 000000003C54: 7F060280
	v_mov_b32_e32 v132, 0                                      // 000000003C58: 7F080280
	v_mov_b32_e32 v133, 0                                      // 000000003C5C: 7F0A0280
	v_mov_b32_e32 v134, 0                                      // 000000003C60: 7F0C0280
	v_mov_b32_e32 v135, 0                                      // 000000003C64: 7F0E0280
	v_mov_b32_e32 v136, 0                                      // 000000003C68: 7F100280
	v_mov_b32_e32 v137, 0                                      // 000000003C6C: 7F120280
	v_mov_b32_e32 v138, 0                                      // 000000003C70: 7F140280
	v_mov_b32_e32 v139, 0                                      // 000000003C74: 7F160280
	v_mov_b32_e32 v140, 0                                      // 000000003C78: 7F180280
	v_mov_b32_e32 v141, 0                                      // 000000003C7C: 7F1A0280
	v_mov_b32_e32 v142, 0                                      // 000000003C80: 7F1C0280
	v_mov_b32_e32 v143, 0                                      // 000000003C84: 7F1E0280
	v_mov_b32_e32 v144, 0                                      // 000000003C88: 7F200280
	v_mov_b32_e32 v145, 0                                      // 000000003C8C: 7F220280
	v_mov_b32_e32 v146, 0                                      // 000000003C90: 7F240280
	v_mov_b32_e32 v147, 0                                      // 000000003C94: 7F260280
	v_mov_b32_e32 v148, 0                                      // 000000003C98: 7F280280
	v_mov_b32_e32 v149, 0                                      // 000000003C9C: 7F2A0280
	v_mov_b32_e32 v150, 0                                      // 000000003CA0: 7F2C0280
	v_mov_b32_e32 v151, 0                                      // 000000003CA4: 7F2E0280
	v_mov_b32_e32 v152, 0                                      // 000000003CA8: 7F300280
	v_mov_b32_e32 v153, 0                                      // 000000003CAC: 7F320280
	v_mov_b32_e32 v154, 0                                      // 000000003CB0: 7F340280
	v_mov_b32_e32 v155, 0                                      // 000000003CB4: 7F360280
	v_mov_b32_e32 v156, 0                                      // 000000003CB8: 7F380280
	v_mov_b32_e32 v157, 0                                      // 000000003CBC: 7F3A0280
	v_mov_b32_e32 v158, 0                                      // 000000003CC0: 7F3C0280
	v_mov_b32_e32 v159, 0                                      // 000000003CC4: 7F3E0280
	s_cmp_le_u32 s7, 0                                         // 000000003CC8: BF0B8007
	s_cbranch_scc1 label_1076                                  // 000000003CCC: BF850E02
	v_lshrrev_b32_e32 v16, 5, v0                               // 000000003CD0: 20200085
	v_mul_i32_i24_e32 v17, 4, v16                              // 000000003CD4: 0C222084
	v_and_b32_e32 v16, 31, v0                                  // 000000003CD8: 2620009F
	v_mul_i32_i24_e32 v12, 0x44, v16                           // 000000003CDC: 0C1820FF 00000044
	v_add_u32_e32 v12, v12, v17                                // 000000003CE4: 6818230C
	v_lshlrev_b32_e32 v12, 2, v12                              // 000000003CE8: 24181882
	v_lshrrev_b32_e32 v16, 5, v0                               // 000000003CEC: 20200085
	v_mul_i32_i24_e32 v17, 0x80, v16                           // 000000003CF0: 0C2220FF 00000080
	v_and_b32_e32 v16, 30, v0                                  // 000000003CF8: 2620009E
	v_add_u32_e32 v13, v17, v16                                // 000000003CFC: 681A2111
	v_and_b32_e32 v16, 1, v0                                   // 000000003D00: 26200081
	v_mul_i32_i24_e32 v16, 0x410, v16                          // 000000003D04: 0C2020FF 00000410
	v_add_u32_e32 v13, v16, v13                                // 000000003D0C: 681A1B10
	v_lshlrev_b32_e32 v13, 2, v13                              // 000000003D10: 241A1A82
	v_lshlrev_b32_e32 v14, 1, v0                               // 000000003D14: 241C0081
	s_mul_i32 s40, s5, 0x80                                    // 000000003D18: 9228FF05 00000080
	v_add_u32_e32 v14, s40, v14                                // 000000003D20: 681C1C28
	v_lshlrev_b32_e32 v14, 2, v14                              // 000000003D24: 241C1C82
	v_lshlrev_b32_e32 v4, 2, v0                                // 000000003D28: 24080082
	s_mul_i32 s40, s5, s61                                     // 000000003D2C: 92283D05
	v_add_u32_e32 v4, s40, v4                                  // 000000003D30: 68080828
	s_mul_i32 s41, 8, s61                                      // 000000003D34: 92293D88
	v_add_u32_e32 v5, s41, v4                                  // 000000003D38: 680A0829
	v_add_u32_e32 v6, s41, v5                                  // 000000003D3C: 680C0A29
	v_add_u32_e32 v7, s41, v6                                  // 000000003D40: 680E0C29
	s_mul_i32 s40, s5, 0x110                                   // 000000003D44: 9228FF05 00000110
	s_add_u32 s68, 0, s40                                      // 000000003D4C: 80442880
	s_add_u32 s69, 0x2200, s68                                 // 000000003D50: 804544FF 00002200
	v_lshlrev_b32_e32 v8, 2, v0                                // 000000003D58: 24100082
	s_mul_i32 s40, s5, s80                                     // 000000003D5C: 92285005
	s_mul_i32 s40, s40, 4                                      // 000000003D60: 92288428
	v_add_u32_e32 v8, s40, v8                                  // 000000003D64: 68101028
	v_add_u32_e32 v9, s80, v8                                  // 000000003D68: 68121050
	v_add_u32_e32 v10, s80, v9                                 // 000000003D6C: 68141250
	v_add_u32_e32 v11, s80, v10                                // 000000003D70: 68161450
	s_waitcnt vmcnt(0) expcnt(0) lgkmcnt(0)                    // 000000003D74: BF8C0000
	s_barrier                                                  // 000000003D78: BF8A0000
	s_cmp_lt_i32 s5, 4                                         // 000000003D7C: BF048405
	s_cbranch_scc1 label_02B1                                  // 000000003D80: BF850010
	ds_read_b128 v[160:163], v2 offset:17408                   // 000000003D84: D9FE4400 A0000002
	ds_read_b128 v[164:167], v2 offset:17440                   // 000000003D8C: D9FE4420 A4000002
	ds_read_b128 v[168:171], v2 offset:17472                   // 000000003D94: D9FE4440 A8000002
	ds_read_b128 v[172:175], v2 offset:17504                   // 000000003D9C: D9FE4460 AC000002
	ds_read_b128 v[176:179], v2 offset:17536                   // 000000003DA4: D9FE4480 B0000002
	ds_read_b128 v[180:183], v2 offset:17568                   // 000000003DAC: D9FE44A0 B4000002
	ds_read_b128 v[184:187], v2 offset:17600                   // 000000003DB4: D9FE44C0 B8000002
	ds_read_b128 v[188:191], v2 offset:17632                   // 000000003DBC: D9FE44E0 BC000002

0000000000003dc4 <label_02B1>:
	s_waitcnt vmcnt(0) expcnt(0) lgkmcnt(0)                    // 000000003DC4: BF8C0000
	s_barrier                                                  // 000000003DC8: BF8A0000
	s_mov_b32 m0, s68                                          // 000000003DCC: BEFC0044
	buffer_load_dword v4, s[12:15], s60 offen lds              // 000000003DD0: E0511000 3C030004
	s_add_u32 m0, 0x880, m0                                    // 000000003DD8: 807C7CFF 00000880
	buffer_load_dword v5, s[12:15], s60 offen lds              // 000000003DE0: E0511000 3C030005
	s_add_u32 m0, 0x880, m0                                    // 000000003DE8: 807C7CFF 00000880
	buffer_load_dword v6, s[12:15], s60 offen lds              // 000000003DF0: E0511000 3C030006
	s_add_u32 m0, 0x880, m0                                    // 000000003DF8: 807C7CFF 00000880
	buffer_load_dword v7, s[12:15], s60 offen lds              // 000000003E00: E0511000 3C030007
	s_add_u32 m0, 0x880, m0                                    // 000000003E08: 807C7CFF 00000880
	s_add_i32 s60, s43, s60                                    // 000000003E10: 813C3C2B
	s_waitcnt vmcnt(0)                                         // 000000003E14: BF8C0F70
	s_barrier                                                  // 000000003E18: BF8A0000
	ds_read_b128 v[192:195], v12                               // 000000003E1C: D9FE0000 C000000C
	ds_read_b128 v[196:199], v12 offset:32                     // 000000003E24: D9FE0020 C400000C
	ds_read_b128 v[200:203], v12 offset:64                     // 000000003E2C: D9FE0040 C800000C
	ds_read_b128 v[204:207], v12 offset:96                     // 000000003E34: D9FE0060 CC00000C
	ds_read_b128 v[208:211], v12 offset:128                    // 000000003E3C: D9FE0080 D000000C
	ds_read_b128 v[212:215], v12 offset:160                    // 000000003E44: D9FE00A0 D400000C
	ds_read_b128 v[216:219], v12 offset:192                    // 000000003E4C: D9FE00C0 D800000C
	ds_read_b128 v[220:223], v12 offset:224                    // 000000003E54: D9FE00E0 DC00000C
	s_waitcnt lgkmcnt(0)                                       // 000000003E5C: BF8CC07F
	s_barrier                                                  // 000000003E60: BF8A0000
	s_mov_b32 m0, s69                                          // 000000003E64: BEFC0045
	v_mfma_f32_32x32x8_bf16 v[64:79], v[192:193], v[160:161], 0// 000000003E68: D3E00040 020341C0
	buffer_load_dword v4, s[12:15], s60 offen lds              // 000000003E70: E0511000 3C030004
	s_add_u32 m0, 0x880, m0                                    // 000000003E78: 807C7CFF 00000880
	v_mfma_f32_32x32x8_bf16 v[64:79], v[194:195], v[162:163], v[64:79]// 000000003E80: D3E00040 050345C2
	v_mfma_f32_32x32x8_bf16 v[64:79], v[196:197], v[164:165], v[64:79]// 000000003E88: D3E00040 050349C4
	buffer_load_dword v5, s[12:15], s60 offen lds              // 000000003E90: E0511000 3C030005
	s_add_u32 m0, 0x880, m0                                    // 000000003E98: 807C7CFF 00000880
	v_mfma_f32_32x32x8_bf16 v[64:79], v[198:199], v[166:167], v[64:79]// 000000003EA0: D3E00040 05034DC6
	v_mfma_f32_32x32x8_bf16 v[64:79], v[200:201], v[168:169], v[64:79]// 000000003EA8: D3E00040 050351C8
	buffer_load_dword v6, s[12:15], s60 offen lds              // 000000003EB0: E0511000 3C030006
	s_add_u32 m0, 0x880, m0                                    // 000000003EB8: 807C7CFF 00000880
	v_mfma_f32_32x32x8_bf16 v[64:79], v[202:203], v[170:171], v[64:79]// 000000003EC0: D3E00040 050355CA
	v_mfma_f32_32x32x8_bf16 v[64:79], v[204:205], v[172:173], v[64:79]// 000000003EC8: D3E00040 050359CC
	buffer_load_dword v7, s[12:15], s60 offen lds              // 000000003ED0: E0511000 3C030007
	s_add_u32 m0, 0x880, m0                                    // 000000003ED8: 807C7CFF 00000880
	v_mfma_f32_32x32x8_bf16 v[64:79], v[206:207], v[174:175], v[64:79]// 000000003EE0: D3E00040 05035DCE
	v_mfma_f32_32x32x8_bf16 v[64:79], v[208:209], v[176:177], v[64:79]// 000000003EE8: D3E00040 050361D0
	buffer_load_dword v224, v8, s[16:19], s35 offen            // 000000003EF0: E0501000 2304E008
	v_mfma_f32_32x32x8_bf16 v[64:79], v[210:211], v[178:179], v[64:79]// 000000003EF8: D3E00040 050365D2
	v_mfma_f32_32x32x8_bf16 v[64:79], v[212:213], v[180:181], v[64:79]// 000000003F00: D3E00040 050369D4
	buffer_load_dword v225, v9, s[16:19], s35 offen            // 000000003F08: E0501000 2304E109
	v_mfma_f32_32x32x8_bf16 v[64:79], v[214:215], v[182:183], v[64:79]// 000000003F10: D3E00040 05036DD6
	v_mfma_f32_32x32x8_bf16 v[64:79], v[216:217], v[184:185], v[64:79]// 000000003F18: D3E00040 050371D8
	buffer_load_dword v226, v10, s[16:19], s35 offen           // 000000003F20: E0501000 2304E20A
	v_mfma_f32_32x32x8_bf16 v[64:79], v[218:219], v[186:187], v[64:79]// 000000003F28: D3E00040 050375DA
	v_mfma_f32_32x32x8_bf16 v[64:79], v[220:221], v[188:189], v[64:79]// 000000003F30: D3E00040 050379DC
	buffer_load_dword v227, v11, s[16:19], s35 offen           // 000000003F38: E0501000 2304E30B
	v_mfma_f32_32x32x8_bf16 v[64:79], v[222:223], v[190:191], v[64:79]// 000000003F40: D3E00040 05037DDE
	s_add_i32 s60, s43, s60                                    // 000000003F48: 813C3C2B
	s_add_i32 s35, s44, s35                                    // 000000003F4C: 8123232C
	s_cmp_lt_i32 s52, s51                                      // 000000003F50: BF043334
	s_cbranch_scc1 label_03A1                                  // 000000003F54: BF85008B
	s_sub_i32 s40, s51, s52                                    // 000000003F58: 81A83433
	s_sub_i32 s41, s7, s30                                     // 000000003F5C: 81A91E07
	s_and_b32 s41, s41, 31                                     // 000000003F60: 86299F29
	s_add_i32 s40, s40, s41                                    // 000000003F64: 81282928
	v_add_i32 v16, v29, s40                                    // 000000003F68: D29C0010 0000511D
	v_cmp_lt_i32_e64 s[72:73], v16, 0                          // 000000003F70: D0C10048 00010110
	v_cmp_lt_i32_e64 s[74:75], v16, 1                          // 000000003F78: D0C1004A 00010310
	v_cndmask_b32_e64 v64, v64, v31, s[72:73]                  // 000000003F80: D1000040 01223F40
	v_cndmask_b32_e64 v65, v65, v31, s[74:75]                  // 000000003F88: D1000041 012A3F41
	v_cmp_lt_i32_e64 s[72:73], v16, 2                          // 000000003F90: D0C10048 00010510
	v_cmp_lt_i32_e64 s[74:75], v16, 3                          // 000000003F98: D0C1004A 00010710
	v_cndmask_b32_e64 v66, v66, v31, s[72:73]                  // 000000003FA0: D1000042 01223F42
	v_cndmask_b32_e64 v67, v67, v31, s[74:75]                  // 000000003FA8: D1000043 012A3F43
	v_cmp_lt_i32_e64 s[72:73], v16, 8                          // 000000003FB0: D0C10048 00011110
	v_cmp_lt_i32_e64 s[74:75], v16, 9                          // 000000003FB8: D0C1004A 00011310
	v_cndmask_b32_e64 v68, v68, v31, s[72:73]                  // 000000003FC0: D1000044 01223F44
	v_cndmask_b32_e64 v69, v69, v31, s[74:75]                  // 000000003FC8: D1000045 012A3F45
	v_cmp_lt_i32_e64 s[72:73], v16, 10                         // 000000003FD0: D0C10048 00011510
	v_cmp_lt_i32_e64 s[74:75], v16, 11                         // 000000003FD8: D0C1004A 00011710
	v_cndmask_b32_e64 v70, v70, v31, s[72:73]                  // 000000003FE0: D1000046 01223F46
	v_cndmask_b32_e64 v71, v71, v31, s[74:75]                  // 000000003FE8: D1000047 012A3F47
	v_cmp_lt_i32_e64 s[72:73], v16, 16                         // 000000003FF0: D0C10048 00012110
	v_cmp_lt_i32_e64 s[74:75], v16, 17                         // 000000003FF8: D0C1004A 00012310
	v_cndmask_b32_e64 v72, v72, v31, s[72:73]                  // 000000004000: D1000048 01223F48
	v_cndmask_b32_e64 v73, v73, v31, s[74:75]                  // 000000004008: D1000049 012A3F49
	v_cmp_lt_i32_e64 s[72:73], v16, 18                         // 000000004010: D0C10048 00012510
	v_cmp_lt_i32_e64 s[74:75], v16, 19                         // 000000004018: D0C1004A 00012710
	v_cndmask_b32_e64 v74, v74, v31, s[72:73]                  // 000000004020: D100004A 01223F4A
	v_cndmask_b32_e64 v75, v75, v31, s[74:75]                  // 000000004028: D100004B 012A3F4B
	v_cmp_lt_i32_e64 s[72:73], v16, 24                         // 000000004030: D0C10048 00013110
	v_cmp_lt_i32_e64 s[74:75], v16, 25                         // 000000004038: D0C1004A 00013310
	v_cndmask_b32_e64 v76, v76, v31, s[72:73]                  // 000000004040: D100004C 01223F4C
	v_cndmask_b32_e64 v77, v77, v31, s[74:75]                  // 000000004048: D100004D 012A3F4D
	v_cmp_lt_i32_e64 s[72:73], v16, 26                         // 000000004050: D0C10048 00013510
	v_cmp_lt_i32_e64 s[74:75], v16, 27                         // 000000004058: D0C1004A 00013710
	v_cndmask_b32_e64 v78, v78, v31, s[72:73]                  // 000000004060: D100004E 01223F4E
	v_cndmask_b32_e64 v79, v79, v31, s[74:75]                  // 000000004068: D100004F 012A3F4F
	s_cmp_lt_i32 s52, s54                                      // 000000004070: BF043634
	s_cbranch_scc1 label_03A1                                  // 000000004074: BF850043
	s_sub_i32 s40, s7, s52                                     // 000000004078: 81A83407
	v_sub_i32 v16, s40, v30                                    // 00000000407C: D29D0010 00023C28
	v_cmp_lt_i32_e64 s[72:73], 0, v16                          // 000000004084: D0C10048 00022080
	v_cmp_lt_i32_e64 s[74:75], 1, v16                          // 00000000408C: D0C1004A 00022081
	v_cndmask_b32_e64 v64, v31, v64, s[72:73]                  // 000000004094: D1000040 0122811F
	v_cndmask_b32_e64 v65, v31, v65, s[74:75]                  // 00000000409C: D1000041 012A831F
	v_cmp_lt_i32_e64 s[72:73], 2, v16                          // 0000000040A4: D0C10048 00022082
	v_cmp_lt_i32_e64 s[74:75], 3, v16                          // 0000000040AC: D0C1004A 00022083
	v_cndmask_b32_e64 v66, v31, v66, s[72:73]                  // 0000000040B4: D1000042 0122851F
	v_cndmask_b32_e64 v67, v31, v67, s[74:75]                  // 0000000040BC: D1000043 012A871F
	v_cmp_lt_i32_e64 s[72:73], 8, v16                          // 0000000040C4: D0C10048 00022088
	v_cmp_lt_i32_e64 s[74:75], 9, v16                          // 0000000040CC: D0C1004A 00022089
	v_cndmask_b32_e64 v68, v31, v68, s[72:73]                  // 0000000040D4: D1000044 0122891F
	v_cndmask_b32_e64 v69, v31, v69, s[74:75]                  // 0000000040DC: D1000045 012A8B1F
	v_cmp_lt_i32_e64 s[72:73], 10, v16                         // 0000000040E4: D0C10048 0002208A
	v_cmp_lt_i32_e64 s[74:75], 11, v16                         // 0000000040EC: D0C1004A 0002208B
	v_cndmask_b32_e64 v70, v31, v70, s[72:73]                  // 0000000040F4: D1000046 01228D1F
	v_cndmask_b32_e64 v71, v31, v71, s[74:75]                  // 0000000040FC: D1000047 012A8F1F
	v_cmp_lt_i32_e64 s[72:73], 16, v16                         // 000000004104: D0C10048 00022090
	v_cmp_lt_i32_e64 s[74:75], 17, v16                         // 00000000410C: D0C1004A 00022091
	v_cndmask_b32_e64 v72, v31, v72, s[72:73]                  // 000000004114: D1000048 0122911F
	v_cndmask_b32_e64 v73, v31, v73, s[74:75]                  // 00000000411C: D1000049 012A931F
	v_cmp_lt_i32_e64 s[72:73], 18, v16                         // 000000004124: D0C10048 00022092
	v_cmp_lt_i32_e64 s[74:75], 19, v16                         // 00000000412C: D0C1004A 00022093
	v_cndmask_b32_e64 v74, v31, v74, s[72:73]                  // 000000004134: D100004A 0122951F
	v_cndmask_b32_e64 v75, v31, v75, s[74:75]                  // 00000000413C: D100004B 012A971F
	v_cmp_lt_i32_e64 s[72:73], 24, v16                         // 000000004144: D0C10048 00022098
	v_cmp_lt_i32_e64 s[74:75], 25, v16                         // 00000000414C: D0C1004A 00022099
	v_cndmask_b32_e64 v76, v31, v76, s[72:73]                  // 000000004154: D100004C 0122991F
	v_cndmask_b32_e64 v77, v31, v77, s[74:75]                  // 00000000415C: D100004D 012A9B1F
	v_cmp_lt_i32_e64 s[72:73], 26, v16                         // 000000004164: D0C10048 0002209A
	v_cmp_lt_i32_e64 s[74:75], 27, v16                         // 00000000416C: D0C1004A 0002209B
	v_cndmask_b32_e64 v78, v31, v78, s[72:73]                  // 000000004174: D100004E 01229D1F
	v_cndmask_b32_e64 v79, v31, v79, s[74:75]                  // 00000000417C: D100004F 012A9F1F

0000000000004184 <label_03A1>:
	v_max3_f32 v25, v64, v65, v28                              // 000000004184: D1D30019 04728340
	v_max3_f32 v25, v66, v67, v25                              // 00000000418C: D1D30019 04668742
	v_max3_f32 v25, v68, v69, v25                              // 000000004194: D1D30019 04668B44
	v_max3_f32 v25, v70, v71, v25                              // 00000000419C: D1D30019 04668F46
	v_max3_f32 v25, v72, v73, v25                              // 0000000041A4: D1D30019 04669348
	v_max3_f32 v25, v74, v75, v25                              // 0000000041AC: D1D30019 0466974A
	v_max3_f32 v25, v76, v77, v25                              // 0000000041B4: D1D30019 04669B4C
	v_max3_f32 v25, v78, v79, v25                              // 0000000041BC: D1D30019 04669F4E
	ds_permute_b32 v24, v32, v25                               // 0000000041C4: D87C0000 18001920
	v_nop                                                      // 0000000041CC: 7E000000
	s_nop 0                                                    // 0000000041D0: BF800000
	v_nop                                                      // 0000000041D4: 7E000000
	s_waitcnt lgkmcnt(0)                                       // 0000000041D8: BF8CC07F
	v_max_f32_e32 v25, v24, v25                                // 0000000041DC: 16323318
	v_mov_b32_e32 v20, 0                                       // 0000000041E0: 7E280280
	v_mov_b32_e32 v28, v25                                     // 0000000041E4: 7E380319
	v_mul_f32_e32 v27, s56, v25                                // 0000000041E8: 0A363238
	v_mul_f32_e32 v20, s56, v20                                // 0000000041EC: 0A282838
	v_exp_f32_e32 v20, v20                                     // 0000000041F0: 7E284114
	v_fma_f32 v64, v64, s56, -v27                              // 0000000041F4: D1CB0040 846C7140
	v_fma_f32 v65, v65, s56, -v27                              // 0000000041FC: D1CB0041 846C7141
	v_fma_f32 v66, v66, s56, -v27                              // 000000004204: D1CB0042 846C7142
	v_fma_f32 v67, v67, s56, -v27                              // 00000000420C: D1CB0043 846C7143
	v_fma_f32 v68, v68, s56, -v27                              // 000000004214: D1CB0044 846C7144
	v_fma_f32 v69, v69, s56, -v27                              // 00000000421C: D1CB0045 846C7145
	v_fma_f32 v70, v70, s56, -v27                              // 000000004224: D1CB0046 846C7146
	v_fma_f32 v71, v71, s56, -v27                              // 00000000422C: D1CB0047 846C7147
	v_fma_f32 v72, v72, s56, -v27                              // 000000004234: D1CB0048 846C7148
	v_fma_f32 v73, v73, s56, -v27                              // 00000000423C: D1CB0049 846C7149
	v_fma_f32 v74, v74, s56, -v27                              // 000000004244: D1CB004A 846C714A
	v_fma_f32 v75, v75, s56, -v27                              // 00000000424C: D1CB004B 846C714B
	v_fma_f32 v76, v76, s56, -v27                              // 000000004254: D1CB004C 846C714C
	v_fma_f32 v77, v77, s56, -v27                              // 00000000425C: D1CB004D 846C714D
	v_fma_f32 v78, v78, s56, -v27                              // 000000004264: D1CB004E 846C714E
	v_fma_f32 v79, v79, s56, -v27                              // 00000000426C: D1CB004F 846C714F
	v_exp_f32_e32 v64, v64                                     // 000000004274: 7E804140
	v_exp_f32_e32 v65, v65                                     // 000000004278: 7E824141
	v_exp_f32_e32 v66, v66                                     // 00000000427C: 7E844142
	v_exp_f32_e32 v67, v67                                     // 000000004280: 7E864143
	v_exp_f32_e32 v68, v68                                     // 000000004284: 7E884144
	v_exp_f32_e32 v69, v69                                     // 000000004288: 7E8A4145
	v_exp_f32_e32 v70, v70                                     // 00000000428C: 7E8C4146
	v_exp_f32_e32 v71, v71                                     // 000000004290: 7E8E4147
	v_exp_f32_e32 v72, v72                                     // 000000004294: 7E904148
	v_exp_f32_e32 v73, v73                                     // 000000004298: 7E924149
	v_exp_f32_e32 v74, v74                                     // 00000000429C: 7E94414A
	v_exp_f32_e32 v75, v75                                     // 0000000042A0: 7E96414B
	v_exp_f32_e32 v76, v76                                     // 0000000042A4: 7E98414C
	v_exp_f32_e32 v77, v77                                     // 0000000042A8: 7E9A414D
	v_exp_f32_e32 v78, v78                                     // 0000000042AC: 7E9C414E
	s_addk_i32 s39, 0x20                                       // 0000000042B0: B7270020
	s_add_i32 s52, s52, s53                                    // 0000000042B4: 81343534
	s_mov_b32 m0, s68                                          // 0000000042B8: BEFC0044
	buffer_load_dword v4, s[12:15], s60 offen lds              // 0000000042BC: E0511000 3C030004
	s_add_u32 m0, 0x880, m0                                    // 0000000042C4: 807C7CFF 00000880
	buffer_load_dword v5, s[12:15], s60 offen lds              // 0000000042CC: E0511000 3C030005
	s_add_u32 m0, 0x880, m0                                    // 0000000042D4: 807C7CFF 00000880
	buffer_load_dword v6, s[12:15], s60 offen lds              // 0000000042DC: E0511000 3C030006
	s_add_u32 m0, 0x880, m0                                    // 0000000042E4: 807C7CFF 00000880
	buffer_load_dword v7, s[12:15], s60 offen lds              // 0000000042EC: E0511000 3C030007
	s_add_u32 m0, 0x880, m0                                    // 0000000042F4: 807C7CFF 00000880
	s_add_i32 s60, s43, s60                                    // 0000000042FC: 813C3C2B
	s_waitcnt vmcnt(8)                                         // 000000004300: BF8C0F78
	s_barrier                                                  // 000000004304: BF8A0000
	s_cmp_lt_i32 s39, s38                                      // 000000004308: BF042627
	s_cbranch_scc0 label_0DFA                                  // 00000000430C: BF8409F6
	s_cmp_lt_i32 s5, 4                                         // 000000004310: BF048405
	s_cbranch_scc0 label_0911                                  // 000000004314: BF84050B
	buffer_load_dword v228, v8, s[16:19], s35 offen            // 000000004318: E0501000 2304E408
	buffer_load_dword v229, v9, s[16:19], s35 offen            // 000000004320: E0501000 2304E509
	buffer_load_dword v230, v10, s[16:19], s35 offen           // 000000004328: E0501000 2304E60A
	buffer_load_dword v231, v11, s[16:19], s35 offen           // 000000004330: E0501000 2304E70B
	s_add_i32 s35, s44, s35                                    // 000000004338: 8123232C
	ds_read_b128 v[192:195], v12 offset:8704                   // 00000000433C: D9FE2200 C000000C
	ds_read_b128 v[196:199], v12 offset:8736                   // 000000004344: D9FE2220 C400000C
	ds_read_b128 v[200:203], v12 offset:8768                   // 00000000434C: D9FE2240 C800000C
	ds_read_b128 v[204:207], v12 offset:8800                   // 000000004354: D9FE2260 CC00000C
	ds_read_b128 v[208:211], v12 offset:8832                   // 00000000435C: D9FE2280 D000000C
	ds_read_b128 v[212:215], v12 offset:8864                   // 000000004364: D9FE22A0 D400000C
	ds_read_b128 v[216:219], v12 offset:8896                   // 00000000436C: D9FE22C0 D800000C
	ds_read_b128 v[220:223], v12 offset:8928                   // 000000004374: D9FE22E0 DC00000C
	s_setprio 0                                                // 00000000437C: BF8F0000
	s_barrier                                                  // 000000004380: BF8A0000

0000000000004384 <label_0421>:
	s_waitcnt lgkmcnt(0)                                       // 000000004384: BF8CC07F
	v_mfma_f32_32x32x8_bf16 v[80:95], v[192:193], v[160:161], 0// 000000004388: D3E00050 020341C0
	v_exp_f32_e32 v79, v79                                     // 000000004390: 7E9E414F
	v_mul_f32_e32 v22, v20, v22                                // 000000004394: 0A2C2D14
	v_add_f32_e32 v38, v65, v64                                // 000000004398: 024C8141
	v_add_f32_e32 v38, v66, v38                                // 00000000439C: 024C4D42
	v_mfma_f32_32x32x8_bf16 v[80:95], v[194:195], v[162:163], v[80:95]// 0000000043A0: D3E00050 054345C2
	v_add_f32_e32 v38, v67, v38                                // 0000000043A8: 024C4D43
	v_add_f32_e32 v38, v68, v38                                // 0000000043AC: 024C4D44
	v_add_f32_e32 v38, v69, v38                                // 0000000043B0: 024C4D45
	v_add_f32_e32 v38, v70, v38                                // 0000000043B4: 024C4D46
	v_add_f32_e32 v38, v71, v38                                // 0000000043B8: 024C4D47
	v_add_f32_e32 v38, v72, v38                                // 0000000043BC: 024C4D48
	v_add_f32_e32 v38, v73, v38                                // 0000000043C0: 024C4D49
	v_mfma_f32_32x32x8_bf16 v[80:95], v[196:197], v[164:165], v[80:95]// 0000000043C4: D3E00050 054349C4
	v_add_f32_e32 v38, v74, v38                                // 0000000043CC: 024C4D4A
	v_add_f32_e32 v38, v75, v38                                // 0000000043D0: 024C4D4B
	v_add_f32_e32 v38, v76, v38                                // 0000000043D4: 024C4D4C
	v_add_f32_e32 v38, v77, v38                                // 0000000043D8: 024C4D4D
	v_add_f32_e32 v38, v78, v38                                // 0000000043DC: 024C4D4E
	v_add_f32_e32 v38, v79, v38                                // 0000000043E0: 024C4D4F
	v_add_f32_e32 v22, v38, v22                                // 0000000043E4: 022C2D26
	v_mfma_f32_32x32x8_bf16 v[80:95], v[198:199], v[166:167], v[80:95]// 0000000043E8: D3E00050 05434DC6
	v_mul_f32_e32 v96, v20, v96                                // 0000000043F0: 0AC0C114
	v_mul_f32_e32 v97, v20, v97                                // 0000000043F4: 0AC2C314
	v_mul_f32_e32 v98, v20, v98                                // 0000000043F8: 0AC4C514
	v_mul_f32_e32 v99, v20, v99                                // 0000000043FC: 0AC6C714
	v_mul_f32_e32 v100, v20, v100                              // 000000004400: 0AC8C914
	v_mul_f32_e32 v101, v20, v101                              // 000000004404: 0ACACB14
	v_mul_f32_e32 v102, v20, v102                              // 000000004408: 0ACCCD14
	v_mfma_f32_32x32x8_bf16 v[80:95], v[200:201], v[168:169], v[80:95]// 00000000440C: D3E00050 054351C8
	v_mul_f32_e32 v103, v20, v103                              // 000000004414: 0ACECF14
	v_mul_f32_e32 v104, v20, v104                              // 000000004418: 0AD0D114
	v_mul_f32_e32 v105, v20, v105                              // 00000000441C: 0AD2D314
	v_mul_f32_e32 v106, v20, v106                              // 000000004420: 0AD4D514
	v_mul_f32_e32 v107, v20, v107                              // 000000004424: 0AD6D714
	v_mul_f32_e32 v108, v20, v108                              // 000000004428: 0AD8D914
	v_mul_f32_e32 v109, v20, v109                              // 00000000442C: 0ADADB14
	v_mfma_f32_32x32x8_bf16 v[80:95], v[202:203], v[170:171], v[80:95]// 000000004430: D3E00050 054355CA
	v_mul_f32_e32 v110, v20, v110                              // 000000004438: 0ADCDD14
	v_mul_f32_e32 v111, v20, v111                              // 00000000443C: 0ADEDF14
	v_mul_f32_e32 v112, v20, v112                              // 000000004440: 0AE0E114
	v_mul_f32_e32 v113, v20, v113                              // 000000004444: 0AE2E314
	v_mul_f32_e32 v114, v20, v114                              // 000000004448: 0AE4E514
	v_mul_f32_e32 v115, v20, v115                              // 00000000444C: 0AE6E714
	v_mul_f32_e32 v116, v20, v116                              // 000000004450: 0AE8E914
	v_mfma_f32_32x32x8_bf16 v[80:95], v[204:205], v[172:173], v[80:95]// 000000004454: D3E00050 054359CC
	v_mul_f32_e32 v117, v20, v117                              // 00000000445C: 0AEAEB14
	v_mul_f32_e32 v118, v20, v118                              // 000000004460: 0AECED14
	v_mul_f32_e32 v119, v20, v119                              // 000000004464: 0AEEEF14
	v_mul_f32_e32 v120, v20, v120                              // 000000004468: 0AF0F114
	v_mul_f32_e32 v121, v20, v121                              // 00000000446C: 0AF2F314
	v_mul_f32_e32 v122, v20, v122                              // 000000004470: 0AF4F514
	v_mul_f32_e32 v123, v20, v123                              // 000000004474: 0AF6F714
	v_mfma_f32_32x32x8_bf16 v[80:95], v[206:207], v[174:175], v[80:95]// 000000004478: D3E00050 05435DCE
	v_mul_f32_e32 v124, v20, v124                              // 000000004480: 0AF8F914
	v_mul_f32_e32 v125, v20, v125                              // 000000004484: 0AFAFB14
	v_mul_f32_e32 v126, v20, v126                              // 000000004488: 0AFCFD14
	v_mul_f32_e32 v127, v20, v127                              // 00000000448C: 0AFEFF14
	v_mul_f32_e32 v128, v20, v128                              // 000000004490: 0B010114
	v_mul_f32_e32 v129, v20, v129                              // 000000004494: 0B030314
	v_mul_f32_e32 v130, v20, v130                              // 000000004498: 0B050514
	v_mfma_f32_32x32x8_bf16 v[80:95], v[208:209], v[176:177], v[80:95]// 00000000449C: D3E00050 054361D0
	v_mul_f32_e32 v131, v20, v131                              // 0000000044A4: 0B070714
	v_mul_f32_e32 v132, v20, v132                              // 0000000044A8: 0B090914
	v_mul_f32_e32 v133, v20, v133                              // 0000000044AC: 0B0B0B14
	v_mul_f32_e32 v134, v20, v134                              // 0000000044B0: 0B0D0D14
	v_mul_f32_e32 v135, v20, v135                              // 0000000044B4: 0B0F0F14
	v_mul_f32_e32 v136, v20, v136                              // 0000000044B8: 0B111114
	v_mul_f32_e32 v137, v20, v137                              // 0000000044BC: 0B131314
	v_mfma_f32_32x32x8_bf16 v[80:95], v[210:211], v[178:179], v[80:95]// 0000000044C0: D3E00050 054365D2
	v_mul_f32_e32 v138, v20, v138                              // 0000000044C8: 0B151514
	v_mul_f32_e32 v139, v20, v139                              // 0000000044CC: 0B171714
	v_mul_f32_e32 v140, v20, v140                              // 0000000044D0: 0B191914
	v_mul_f32_e32 v141, v20, v141                              // 0000000044D4: 0B1B1B14
	v_mul_f32_e32 v142, v20, v142                              // 0000000044D8: 0B1D1D14
	v_mul_f32_e32 v143, v20, v143                              // 0000000044DC: 0B1F1F14
	v_mul_f32_e32 v144, v20, v144                              // 0000000044E0: 0B212114
	v_mfma_f32_32x32x8_bf16 v[80:95], v[212:213], v[180:181], v[80:95]// 0000000044E4: D3E00050 054369D4
	v_mul_f32_e32 v145, v20, v145                              // 0000000044EC: 0B232314
	v_mul_f32_e32 v146, v20, v146                              // 0000000044F0: 0B252514
	v_mul_f32_e32 v147, v20, v147                              // 0000000044F4: 0B272714
	v_mul_f32_e32 v148, v20, v148                              // 0000000044F8: 0B292914
	v_mul_f32_e32 v149, v20, v149                              // 0000000044FC: 0B2B2B14
	v_mul_f32_e32 v150, v20, v150                              // 000000004500: 0B2D2D14
	v_mul_f32_e32 v151, v20, v151                              // 000000004504: 0B2F2F14
	v_mfma_f32_32x32x8_bf16 v[80:95], v[214:215], v[182:183], v[80:95]// 000000004508: D3E00050 05436DD6
	s_waitcnt vmcnt(8)                                         // 000000004510: BF8C0F78
	s_barrier                                                  // 000000004514: BF8A0000
	v_mfma_f32_32x32x8_bf16 v[80:95], v[216:217], v[184:185], v[80:95]// 000000004518: D3E00050 054371D8
	v_mul_f32_e32 v152, v20, v152                              // 000000004520: 0B313114
	v_mul_f32_e32 v153, v20, v153                              // 000000004524: 0B333314
	v_mul_f32_e32 v154, v20, v154                              // 000000004528: 0B353514
	v_mul_f32_e32 v155, v20, v155                              // 00000000452C: 0B373714
	v_mul_f32_e32 v156, v20, v156                              // 000000004530: 0B393914
	v_mul_f32_e32 v157, v20, v157                              // 000000004534: 0B3B3B14
	v_mul_f32_e32 v158, v20, v158                              // 000000004538: 0B3D3D14
	v_mfma_f32_32x32x8_bf16 v[80:95], v[218:219], v[186:187], v[80:95]// 00000000453C: D3E00050 054375DA
	v_mul_f32_e32 v159, v20, v159                              // 000000004544: 0B3F3F14
	v_cmp_u_f32_e64 s[70:71], v64, v64                         // 000000004548: D0480046 00028140
	v_bfe_u32 v40, v64, 16, 1                                  // 000000004550: D1C80028 02052140
	v_add3_u32 v40, v64, v40, v43                              // 000000004558: D1FF0028 04AE5140
	v_cndmask_b32_e64 v16, v40, v42, s[70:71]                  // 000000004560: D1000010 011A5528
	v_lshrrev_b32_e32 v16, 16, v16                             // 000000004568: 20202090
	v_cmp_u_f32_e64 s[70:71], v65, v65                         // 00000000456C: D0480046 00028341
	v_bfe_u32 v40, v65, 16, 1                                  // 000000004574: D1C80028 02052141
	v_add3_u32 v40, v65, v40, v43                              // 00000000457C: D1FF0028 04AE5141
	v_cndmask_b32_e64 v17, v40, v42, s[70:71]                  // 000000004584: D1000011 011A5528
	v_and_or_b32 v64, v17, v41, v16                            // 00000000458C: D2010040 04425311
	v_cmp_u_f32_e64 s[70:71], v66, v66                         // 000000004594: D0480046 00028542
	v_bfe_u32 v40, v66, 16, 1                                  // 00000000459C: D1C80028 02052142
	v_add3_u32 v40, v66, v40, v43                              // 0000000045A4: D1FF0028 04AE5142
	v_cndmask_b32_e64 v16, v40, v42, s[70:71]                  // 0000000045AC: D1000010 011A5528
	v_lshrrev_b32_e32 v16, 16, v16                             // 0000000045B4: 20202090
	v_cmp_u_f32_e64 s[70:71], v67, v67                         // 0000000045B8: D0480046 00028743
	v_bfe_u32 v40, v67, 16, 1                                  // 0000000045C0: D1C80028 02052143
	v_add3_u32 v40, v67, v40, v43                              // 0000000045C8: D1FF0028 04AE5143
	v_cndmask_b32_e64 v17, v40, v42, s[70:71]                  // 0000000045D0: D1000011 011A5528
	v_and_or_b32 v65, v17, v41, v16                            // 0000000045D8: D2010041 04425311
	v_cmp_u_f32_e64 s[70:71], v68, v68                         // 0000000045E0: D0480046 00028944
	v_bfe_u32 v40, v68, 16, 1                                  // 0000000045E8: D1C80028 02052144
	v_add3_u32 v40, v68, v40, v43                              // 0000000045F0: D1FF0028 04AE5144
	v_cndmask_b32_e64 v16, v40, v42, s[70:71]                  // 0000000045F8: D1000010 011A5528
	v_lshrrev_b32_e32 v16, 16, v16                             // 000000004600: 20202090
	v_cmp_u_f32_e64 s[70:71], v69, v69                         // 000000004604: D0480046 00028B45
	v_bfe_u32 v40, v69, 16, 1                                  // 00000000460C: D1C80028 02052145
	v_add3_u32 v40, v69, v40, v43                              // 000000004614: D1FF0028 04AE5145
	v_cndmask_b32_e64 v17, v40, v42, s[70:71]                  // 00000000461C: D1000011 011A5528
	v_and_or_b32 v66, v17, v41, v16                            // 000000004624: D2010042 04425311
	v_mfma_f32_32x32x8_bf16 v[80:95], v[220:221], v[188:189], v[80:95]// 00000000462C: D3E00050 054379DC
	v_cmp_u_f32_e64 s[70:71], v70, v70                         // 000000004634: D0480046 00028D46
	v_bfe_u32 v40, v70, 16, 1                                  // 00000000463C: D1C80028 02052146
	v_add3_u32 v40, v70, v40, v43                              // 000000004644: D1FF0028 04AE5146
	v_cndmask_b32_e64 v16, v40, v42, s[70:71]                  // 00000000464C: D1000010 011A5528
	v_lshrrev_b32_e32 v16, 16, v16                             // 000000004654: 20202090
	v_cmp_u_f32_e64 s[70:71], v71, v71                         // 000000004658: D0480046 00028F47
	v_bfe_u32 v40, v71, 16, 1                                  // 000000004660: D1C80028 02052147
	v_add3_u32 v40, v71, v40, v43                              // 000000004668: D1FF0028 04AE5147
	v_cndmask_b32_e64 v17, v40, v42, s[70:71]                  // 000000004670: D1000011 011A5528
	v_and_or_b32 v67, v17, v41, v16                            // 000000004678: D2010043 04425311
	v_cmp_u_f32_e64 s[70:71], v72, v72                         // 000000004680: D0480046 00029148
	v_bfe_u32 v40, v72, 16, 1                                  // 000000004688: D1C80028 02052148
	v_add3_u32 v40, v72, v40, v43                              // 000000004690: D1FF0028 04AE5148
	v_cndmask_b32_e64 v16, v40, v42, s[70:71]                  // 000000004698: D1000010 011A5528
	v_lshrrev_b32_e32 v16, 16, v16                             // 0000000046A0: 20202090
	v_cmp_u_f32_e64 s[70:71], v73, v73                         // 0000000046A4: D0480046 00029349
	v_bfe_u32 v40, v73, 16, 1                                  // 0000000046AC: D1C80028 02052149
	v_add3_u32 v40, v73, v40, v43                              // 0000000046B4: D1FF0028 04AE5149
	v_cndmask_b32_e64 v17, v40, v42, s[70:71]                  // 0000000046BC: D1000011 011A5528
	v_and_or_b32 v68, v17, v41, v16                            // 0000000046C4: D2010044 04425311
	v_cmp_u_f32_e64 s[70:71], v74, v74                         // 0000000046CC: D0480046 0002954A
	v_bfe_u32 v40, v74, 16, 1                                  // 0000000046D4: D1C80028 0205214A
	v_add3_u32 v40, v74, v40, v43                              // 0000000046DC: D1FF0028 04AE514A
	v_cndmask_b32_e64 v16, v40, v42, s[70:71]                  // 0000000046E4: D1000010 011A5528
	v_lshrrev_b32_e32 v16, 16, v16                             // 0000000046EC: 20202090
	v_cmp_u_f32_e64 s[70:71], v75, v75                         // 0000000046F0: D0480046 0002974B
	v_bfe_u32 v40, v75, 16, 1                                  // 0000000046F8: D1C80028 0205214B
	v_add3_u32 v40, v75, v40, v43                              // 000000004700: D1FF0028 04AE514B
	v_cndmask_b32_e64 v17, v40, v42, s[70:71]                  // 000000004708: D1000011 011A5528
	v_and_or_b32 v69, v17, v41, v16                            // 000000004710: D2010045 04425311
	v_cmp_u_f32_e64 s[70:71], v76, v76                         // 000000004718: D0480046 0002994C
	v_bfe_u32 v40, v76, 16, 1                                  // 000000004720: D1C80028 0205214C
	v_add3_u32 v40, v76, v40, v43                              // 000000004728: D1FF0028 04AE514C
	v_cndmask_b32_e64 v16, v40, v42, s[70:71]                  // 000000004730: D1000010 011A5528
	v_lshrrev_b32_e32 v16, 16, v16                             // 000000004738: 20202090
	v_cmp_u_f32_e64 s[70:71], v77, v77                         // 00000000473C: D0480046 00029B4D
	v_bfe_u32 v40, v77, 16, 1                                  // 000000004744: D1C80028 0205214D
	v_add3_u32 v40, v77, v40, v43                              // 00000000474C: D1FF0028 04AE514D
	v_cndmask_b32_e64 v17, v40, v42, s[70:71]                  // 000000004754: D1000011 011A5528
	v_and_or_b32 v70, v17, v41, v16                            // 00000000475C: D2010046 04425311
	v_cmp_u_f32_e64 s[70:71], v78, v78                         // 000000004764: D0480046 00029D4E
	v_bfe_u32 v40, v78, 16, 1                                  // 00000000476C: D1C80028 0205214E
	v_add3_u32 v40, v78, v40, v43                              // 000000004774: D1FF0028 04AE514E
	v_cndmask_b32_e64 v16, v40, v42, s[70:71]                  // 00000000477C: D1000010 011A5528
	v_lshrrev_b32_e32 v16, 16, v16                             // 000000004784: 20202090
	v_cmp_u_f32_e64 s[70:71], v79, v79                         // 000000004788: D0480046 00029F4F
	v_bfe_u32 v40, v79, 16, 1                                  // 000000004790: D1C80028 0205214F
	v_add3_u32 v40, v79, v40, v43                              // 000000004798: D1FF0028 04AE514F
	v_cndmask_b32_e64 v17, v40, v42, s[70:71]                  // 0000000047A0: D1000011 011A5528
	v_and_or_b32 v71, v17, v41, v16                            // 0000000047A8: D2010047 04425311
	v_mfma_f32_32x32x8_bf16 v[80:95], v[222:223], v[190:191], v[80:95]// 0000000047B0: D3E00050 05437DDE
	v_perm_b32 v232, v225, v224, s50                           // 0000000047B8: D1ED00E8 00CBC1E1
	v_perm_b32 v234, v225, v224, s49                           // 0000000047C0: D1ED00EA 00C7C1E1
	v_perm_b32 v233, v227, v226, s50                           // 0000000047C8: D1ED00E9 00CBC5E3
	v_perm_b32 v235, v227, v226, s49                           // 0000000047D0: D1ED00EB 00C7C5E3
	s_barrier                                                  // 0000000047D8: BF8A0000
	ds_write_b64 v14, v[232:233] offset:17408                  // 0000000047DC: D89A4400 0000E80E
	ds_write_b64 v14, v[234:235] offset:21568                  // 0000000047E4: D89A5440 0000EA0E
	s_waitcnt lgkmcnt(0)                                       // 0000000047EC: BF8CC07F
	s_barrier                                                  // 0000000047F0: BF8A0000
	s_mov_b32 m0, s69                                          // 0000000047F4: BEFC0045
	ds_read_b64 v[192:193], v13 offset:17408                   // 0000000047F8: D8EC4400 C000000D
	ds_read_b64 v[194:195], v13 offset:18432                   // 000000004800: D8EC4800 C200000D
	ds_read_b64 v[196:197], v13 offset:19456                   // 000000004808: D8EC4C00 C400000D
	ds_read_b64 v[198:199], v13 offset:20480                   // 000000004810: D8EC5000 C600000D
	buffer_load_dword v4, s[12:15], s60 offen lds              // 000000004818: E0511000 3C030004
	s_add_u32 m0, 0x880, m0                                    // 000000004820: 807C7CFF 00000880
	ds_read_b64 v[200:201], v13 offset:17536                   // 000000004828: D8EC4480 C800000D
	ds_read_b64 v[202:203], v13 offset:18560                   // 000000004830: D8EC4880 CA00000D
	ds_read_b64 v[204:205], v13 offset:19584                   // 000000004838: D8EC4C80 CC00000D
	ds_read_b64 v[206:207], v13 offset:20608                   // 000000004840: D8EC5080 CE00000D
	buffer_load_dword v5, s[12:15], s60 offen lds              // 000000004848: E0511000 3C030005
	s_add_u32 m0, 0x880, m0                                    // 000000004850: 807C7CFF 00000880
	ds_read_b64 v[208:209], v13 offset:17664                   // 000000004858: D8EC4500 D000000D
	ds_read_b64 v[210:211], v13 offset:18688                   // 000000004860: D8EC4900 D200000D
	ds_read_b64 v[212:213], v13 offset:19712                   // 000000004868: D8EC4D00 D400000D
	ds_read_b64 v[214:215], v13 offset:20736                   // 000000004870: D8EC5100 D600000D
	buffer_load_dword v6, s[12:15], s60 offen lds              // 000000004878: E0511000 3C030006
	s_add_u32 m0, 0x880, m0                                    // 000000004880: 807C7CFF 00000880
	ds_read_b64 v[216:217], v13 offset:17792                   // 000000004888: D8EC4580 D800000D
	ds_read_b64 v[218:219], v13 offset:18816                   // 000000004890: D8EC4980 DA00000D
	ds_read_b64 v[220:221], v13 offset:19840                   // 000000004898: D8EC4D80 DC00000D
	ds_read_b64 v[222:223], v13 offset:20864                   // 0000000048A0: D8EC5180 DE00000D
	buffer_load_dword v7, s[12:15], s60 offen lds              // 0000000048A8: E0511000 3C030007
	s_add_u32 m0, 0x880, m0                                    // 0000000048B0: 807C7CFF 00000880
	s_add_i32 s60, s43, s60                                    // 0000000048B8: 813C3C2B
	s_add_u32 s40, 0x80, s39                                   // 0000000048BC: 802827FF 00000080
	s_cmp_lt_u32 s40, s38                                      // 0000000048C4: BF0A2628
	s_cselect_b32 s43, s43, 0                                  // 0000000048C8: 852B802B
	s_nop 0                                                    // 0000000048CC: BF800000
	s_cmp_lt_i32 s52, s51                                      // 0000000048D0: BF043334
	s_cbranch_scc1 label_0601                                  // 0000000048D4: BF85008B
	s_sub_i32 s40, s51, s52                                    // 0000000048D8: 81A83433
	s_sub_i32 s41, s7, s30                                     // 0000000048DC: 81A91E07
	s_and_b32 s41, s41, 31                                     // 0000000048E0: 86299F29
	s_add_i32 s40, s40, s41                                    // 0000000048E4: 81282928
	v_add_i32 v16, v29, s40                                    // 0000000048E8: D29C0010 0000511D
	v_cmp_lt_i32_e64 s[72:73], v16, 0                          // 0000000048F0: D0C10048 00010110
	v_cmp_lt_i32_e64 s[74:75], v16, 1                          // 0000000048F8: D0C1004A 00010310
	v_cndmask_b32_e64 v80, v80, v31, s[72:73]                  // 000000004900: D1000050 01223F50
	v_cndmask_b32_e64 v81, v81, v31, s[74:75]                  // 000000004908: D1000051 012A3F51
	v_cmp_lt_i32_e64 s[72:73], v16, 2                          // 000000004910: D0C10048 00010510
	v_cmp_lt_i32_e64 s[74:75], v16, 3                          // 000000004918: D0C1004A 00010710
	v_cndmask_b32_e64 v82, v82, v31, s[72:73]                  // 000000004920: D1000052 01223F52
	v_cndmask_b32_e64 v83, v83, v31, s[74:75]                  // 000000004928: D1000053 012A3F53
	v_cmp_lt_i32_e64 s[72:73], v16, 8                          // 000000004930: D0C10048 00011110
	v_cmp_lt_i32_e64 s[74:75], v16, 9                          // 000000004938: D0C1004A 00011310
	v_cndmask_b32_e64 v84, v84, v31, s[72:73]                  // 000000004940: D1000054 01223F54
	v_cndmask_b32_e64 v85, v85, v31, s[74:75]                  // 000000004948: D1000055 012A3F55
	v_cmp_lt_i32_e64 s[72:73], v16, 10                         // 000000004950: D0C10048 00011510
	v_cmp_lt_i32_e64 s[74:75], v16, 11                         // 000000004958: D0C1004A 00011710
	v_cndmask_b32_e64 v86, v86, v31, s[72:73]                  // 000000004960: D1000056 01223F56
	v_cndmask_b32_e64 v87, v87, v31, s[74:75]                  // 000000004968: D1000057 012A3F57
	v_cmp_lt_i32_e64 s[72:73], v16, 16                         // 000000004970: D0C10048 00012110
	v_cmp_lt_i32_e64 s[74:75], v16, 17                         // 000000004978: D0C1004A 00012310
	v_cndmask_b32_e64 v88, v88, v31, s[72:73]                  // 000000004980: D1000058 01223F58
	v_cndmask_b32_e64 v89, v89, v31, s[74:75]                  // 000000004988: D1000059 012A3F59
	v_cmp_lt_i32_e64 s[72:73], v16, 18                         // 000000004990: D0C10048 00012510
	v_cmp_lt_i32_e64 s[74:75], v16, 19                         // 000000004998: D0C1004A 00012710
	v_cndmask_b32_e64 v90, v90, v31, s[72:73]                  // 0000000049A0: D100005A 01223F5A
	v_cndmask_b32_e64 v91, v91, v31, s[74:75]                  // 0000000049A8: D100005B 012A3F5B
	v_cmp_lt_i32_e64 s[72:73], v16, 24                         // 0000000049B0: D0C10048 00013110
	v_cmp_lt_i32_e64 s[74:75], v16, 25                         // 0000000049B8: D0C1004A 00013310
	v_cndmask_b32_e64 v92, v92, v31, s[72:73]                  // 0000000049C0: D100005C 01223F5C
	v_cndmask_b32_e64 v93, v93, v31, s[74:75]                  // 0000000049C8: D100005D 012A3F5D
	v_cmp_lt_i32_e64 s[72:73], v16, 26                         // 0000000049D0: D0C10048 00013510
	v_cmp_lt_i32_e64 s[74:75], v16, 27                         // 0000000049D8: D0C1004A 00013710
	v_cndmask_b32_e64 v94, v94, v31, s[72:73]                  // 0000000049E0: D100005E 01223F5E
	v_cndmask_b32_e64 v95, v95, v31, s[74:75]                  // 0000000049E8: D100005F 012A3F5F
	s_cmp_lt_i32 s52, s54                                      // 0000000049F0: BF043634
	s_cbranch_scc1 label_0601                                  // 0000000049F4: BF850043
	s_sub_i32 s40, s7, s52                                     // 0000000049F8: 81A83407
	v_sub_i32 v16, s40, v30                                    // 0000000049FC: D29D0010 00023C28
	v_cmp_lt_i32_e64 s[72:73], 0, v16                          // 000000004A04: D0C10048 00022080
	v_cmp_lt_i32_e64 s[74:75], 1, v16                          // 000000004A0C: D0C1004A 00022081
	v_cndmask_b32_e64 v80, v31, v80, s[72:73]                  // 000000004A14: D1000050 0122A11F
	v_cndmask_b32_e64 v81, v31, v81, s[74:75]                  // 000000004A1C: D1000051 012AA31F
	v_cmp_lt_i32_e64 s[72:73], 2, v16                          // 000000004A24: D0C10048 00022082
	v_cmp_lt_i32_e64 s[74:75], 3, v16                          // 000000004A2C: D0C1004A 00022083
	v_cndmask_b32_e64 v82, v31, v82, s[72:73]                  // 000000004A34: D1000052 0122A51F
	v_cndmask_b32_e64 v83, v31, v83, s[74:75]                  // 000000004A3C: D1000053 012AA71F
	v_cmp_lt_i32_e64 s[72:73], 8, v16                          // 000000004A44: D0C10048 00022088
	v_cmp_lt_i32_e64 s[74:75], 9, v16                          // 000000004A4C: D0C1004A 00022089
	v_cndmask_b32_e64 v84, v31, v84, s[72:73]                  // 000000004A54: D1000054 0122A91F
	v_cndmask_b32_e64 v85, v31, v85, s[74:75]                  // 000000004A5C: D1000055 012AAB1F
	v_cmp_lt_i32_e64 s[72:73], 10, v16                         // 000000004A64: D0C10048 0002208A
	v_cmp_lt_i32_e64 s[74:75], 11, v16                         // 000000004A6C: D0C1004A 0002208B
	v_cndmask_b32_e64 v86, v31, v86, s[72:73]                  // 000000004A74: D1000056 0122AD1F
	v_cndmask_b32_e64 v87, v31, v87, s[74:75]                  // 000000004A7C: D1000057 012AAF1F
	v_cmp_lt_i32_e64 s[72:73], 16, v16                         // 000000004A84: D0C10048 00022090
	v_cmp_lt_i32_e64 s[74:75], 17, v16                         // 000000004A8C: D0C1004A 00022091
	v_cndmask_b32_e64 v88, v31, v88, s[72:73]                  // 000000004A94: D1000058 0122B11F
	v_cndmask_b32_e64 v89, v31, v89, s[74:75]                  // 000000004A9C: D1000059 012AB31F
	v_cmp_lt_i32_e64 s[72:73], 18, v16                         // 000000004AA4: D0C10048 00022092
	v_cmp_lt_i32_e64 s[74:75], 19, v16                         // 000000004AAC: D0C1004A 00022093
	v_cndmask_b32_e64 v90, v31, v90, s[72:73]                  // 000000004AB4: D100005A 0122B51F
	v_cndmask_b32_e64 v91, v31, v91, s[74:75]                  // 000000004ABC: D100005B 012AB71F
	v_cmp_lt_i32_e64 s[72:73], 24, v16                         // 000000004AC4: D0C10048 00022098
	v_cmp_lt_i32_e64 s[74:75], 25, v16                         // 000000004ACC: D0C1004A 00022099
	v_cndmask_b32_e64 v92, v31, v92, s[72:73]                  // 000000004AD4: D100005C 0122B91F
	v_cndmask_b32_e64 v93, v31, v93, s[74:75]                  // 000000004ADC: D100005D 012ABB1F
	v_cmp_lt_i32_e64 s[72:73], 26, v16                         // 000000004AE4: D0C10048 0002209A
	v_cmp_lt_i32_e64 s[74:75], 27, v16                         // 000000004AEC: D0C1004A 0002209B
	v_cndmask_b32_e64 v94, v31, v94, s[72:73]                  // 000000004AF4: D100005E 0122BD1F
	v_cndmask_b32_e64 v95, v31, v95, s[74:75]                  // 000000004AFC: D100005F 012ABF1F

0000000000004b04 <label_0601>:
	s_waitcnt lgkmcnt(0)                                       // 000000004B04: BF8CC07F
	s_barrier                                                  // 000000004B08: BF8A0000
	v_mfma_f32_32x32x8_bf16 v[96:111], v[192:193], v[64:65], v[96:111]// 000000004B0C: D3E00060 058281C0
	v_max3_f32 v25, v80, v81, v28                              // 000000004B14: D1D30019 0472A350
	v_max3_f32 v25, v82, v83, v25                              // 000000004B1C: D1D30019 0466A752
	v_max3_f32 v25, v84, v85, v25                              // 000000004B24: D1D30019 0466AB54
	v_max3_f32 v25, v86, v87, v25                              // 000000004B2C: D1D30019 0466AF56
	v_max3_f32 v25, v88, v89, v25                              // 000000004B34: D1D30019 0466B358
	v_max3_f32 v25, v90, v91, v25                              // 000000004B3C: D1D30019 0466B75A
	v_max3_f32 v25, v92, v93, v25                              // 000000004B44: D1D30019 0466BB5C
	v_mfma_f32_32x32x8_bf16 v[96:111], v[194:195], v[66:67], v[96:111]// 000000004B4C: D3E00060 058285C2
	v_max3_f32 v25, v94, v95, v25                              // 000000004B54: D1D30019 0466BF5E
	ds_permute_b32 v24, v32, v25                               // 000000004B5C: D87C0000 18001920
	v_mfma_f32_32x32x8_bf16 v[96:111], v[196:197], v[68:69], v[96:111]// 000000004B64: D3E00060 058289C4
	v_nop                                                      // 000000004B6C: 7E000000
	s_nop 0                                                    // 000000004B70: BF800000
	v_mfma_f32_32x32x8_bf16 v[96:111], v[198:199], v[70:71], v[96:111]// 000000004B74: D3E00060 05828DC6
	v_nop                                                      // 000000004B7C: 7E000000
	v_mfma_f32_32x32x8_bf16 v[112:127], v[200:201], v[64:65], v[112:127]// 000000004B80: D3E00070 05C281C8
	s_waitcnt lgkmcnt(0)                                       // 000000004B88: BF8CC07F
	v_max_f32_e32 v25, v24, v25                                // 000000004B8C: 16323318
	v_sub_f32_e32 v20, v28, v25                                // 000000004B90: 0428331C
	v_mov_b32_e32 v28, v25                                     // 000000004B94: 7E380319
	v_mul_f32_e32 v27, s56, v25                                // 000000004B98: 0A363238
	v_mul_f32_e32 v20, s56, v20                                // 000000004B9C: 0A282838
	v_mfma_f32_32x32x8_bf16 v[112:127], v[202:203], v[66:67], v[112:127]// 000000004BA0: D3E00070 05C285CA
	v_exp_f32_e32 v20, v20                                     // 000000004BA8: 7E284114
	v_fma_f32 v80, v80, s56, -v27                              // 000000004BAC: D1CB0050 846C7150
	v_fma_f32 v81, v81, s56, -v27                              // 000000004BB4: D1CB0051 846C7151
	v_fma_f32 v82, v82, s56, -v27                              // 000000004BBC: D1CB0052 846C7152
	v_mfma_f32_32x32x8_bf16 v[112:127], v[204:205], v[68:69], v[112:127]// 000000004BC4: D3E00070 05C289CC
	v_fma_f32 v83, v83, s56, -v27                              // 000000004BCC: D1CB0053 846C7153
	v_fma_f32 v84, v84, s56, -v27                              // 000000004BD4: D1CB0054 846C7154
	v_fma_f32 v85, v85, s56, -v27                              // 000000004BDC: D1CB0055 846C7155
	v_fma_f32 v86, v86, s56, -v27                              // 000000004BE4: D1CB0056 846C7156
	v_fma_f32 v87, v87, s56, -v27                              // 000000004BEC: D1CB0057 846C7157
	v_fma_f32 v88, v88, s56, -v27                              // 000000004BF4: D1CB0058 846C7158
	v_fma_f32 v89, v89, s56, -v27                              // 000000004BFC: D1CB0059 846C7159
	v_mfma_f32_32x32x8_bf16 v[112:127], v[206:207], v[70:71], v[112:127]// 000000004C04: D3E00070 05C28DCE
	v_fma_f32 v90, v90, s56, -v27                              // 000000004C0C: D1CB005A 846C715A
	v_fma_f32 v91, v91, s56, -v27                              // 000000004C14: D1CB005B 846C715B
	v_fma_f32 v92, v92, s56, -v27                              // 000000004C1C: D1CB005C 846C715C
	v_fma_f32 v93, v93, s56, -v27                              // 000000004C24: D1CB005D 846C715D
	v_fma_f32 v94, v94, s56, -v27                              // 000000004C2C: D1CB005E 846C715E
	v_fma_f32 v95, v95, s56, -v27                              // 000000004C34: D1CB005F 846C715F
	v_exp_f32_e32 v80, v80                                     // 000000004C3C: 7EA04150
	v_mfma_f32_32x32x8_bf16 v[128:143], v[208:209], v[64:65], v[128:143]// 000000004C40: D3E00080 060281D0
	v_exp_f32_e32 v81, v81                                     // 000000004C48: 7EA24151
	v_exp_f32_e32 v82, v82                                     // 000000004C4C: 7EA44152
	v_mfma_f32_32x32x8_bf16 v[128:143], v[210:211], v[66:67], v[128:143]// 000000004C50: D3E00080 060285D2
	v_exp_f32_e32 v83, v83                                     // 000000004C58: 7EA64153
	v_exp_f32_e32 v84, v84                                     // 000000004C5C: 7EA84154
	v_mfma_f32_32x32x8_bf16 v[128:143], v[212:213], v[68:69], v[128:143]// 000000004C60: D3E00080 060289D4
	v_exp_f32_e32 v85, v85                                     // 000000004C68: 7EAA4155
	v_exp_f32_e32 v86, v86                                     // 000000004C6C: 7EAC4156
	v_mfma_f32_32x32x8_bf16 v[128:143], v[214:215], v[70:71], v[128:143]// 000000004C70: D3E00080 06028DD6
	v_exp_f32_e32 v87, v87                                     // 000000004C78: 7EAE4157
	v_exp_f32_e32 v88, v88                                     // 000000004C7C: 7EB04158
	v_mfma_f32_32x32x8_bf16 v[144:159], v[216:217], v[64:65], v[144:159]// 000000004C80: D3E00090 064281D8
	v_exp_f32_e32 v89, v89                                     // 000000004C88: 7EB24159
	v_exp_f32_e32 v90, v90                                     // 000000004C8C: 7EB4415A
	v_mfma_f32_32x32x8_bf16 v[144:159], v[218:219], v[66:67], v[144:159]// 000000004C90: D3E00090 064285DA
	v_exp_f32_e32 v91, v91                                     // 000000004C98: 7EB6415B
	v_exp_f32_e32 v92, v92                                     // 000000004C9C: 7EB8415C
	v_mfma_f32_32x32x8_bf16 v[144:159], v[220:221], v[68:69], v[144:159]// 000000004CA0: D3E00090 064289DC
	v_exp_f32_e32 v93, v93                                     // 000000004CA8: 7EBA415D
	v_exp_f32_e32 v94, v94                                     // 000000004CAC: 7EBC415E
	v_mfma_f32_32x32x8_bf16 v[144:159], v[222:223], v[70:71], v[144:159]// 000000004CB0: D3E00090 06428DDE
	s_waitcnt vmcnt(8)                                         // 000000004CB8: BF8C0F78
	s_barrier                                                  // 000000004CBC: BF8A0000
	s_nop 11                                                   // 000000004CC0: BF80000B
	s_nop 11                                                   // 000000004CC4: BF80000B
	ds_read_b128 v[192:195], v12                               // 000000004CC8: D9FE0000 C000000C
	ds_read_b128 v[196:199], v12 offset:32                     // 000000004CD0: D9FE0020 C400000C
	ds_read_b128 v[200:203], v12 offset:64                     // 000000004CD8: D9FE0040 C800000C
	ds_read_b128 v[204:207], v12 offset:96                     // 000000004CE0: D9FE0060 CC00000C
	s_nop 15                                                   // 000000004CE8: BF80000F
	s_nop 15                                                   // 000000004CEC: BF80000F
	s_nop 10                                                   // 000000004CF0: BF80000A
	buffer_load_dword v224, v8, s[16:19], s35 offen            // 000000004CF4: E0501000 2304E008
	ds_read_b128 v[208:211], v12 offset:128                    // 000000004CFC: D9FE0080 D000000C
	ds_read_b128 v[212:215], v12 offset:160                    // 000000004D04: D9FE00A0 D400000C
	buffer_load_dword v225, v9, s[16:19], s35 offen            // 000000004D0C: E0501000 2304E109
	ds_read_b128 v[216:219], v12 offset:192                    // 000000004D14: D9FE00C0 D800000C
	ds_read_b128 v[220:223], v12 offset:224                    // 000000004D1C: D9FE00E0 DC00000C
	buffer_load_dword v226, v10, s[16:19], s35 offen           // 000000004D24: E0501000 2304E20A
	buffer_load_dword v227, v11, s[16:19], s35 offen           // 000000004D2C: E0501000 2304E30B
	s_add_i32 s35, s44, s35                                    // 000000004D34: 8123232C
	s_add_u32 s40, 0x60, s39                                   // 000000004D38: 802827FF 00000060
	s_nop 0                                                    // 000000004D40: BF800000
	s_cmp_lt_u32 s40, s38                                      // 000000004D44: BF0A2628
	s_cselect_b32 s44, s44, 0                                  // 000000004D48: 852C802C
	s_add_i32 s52, s52, s53                                    // 000000004D4C: 81343534
	s_addk_i32 s39, 0x20                                       // 000000004D50: B7270020
	s_cmp_lt_i32 s39, s38                                      // 000000004D54: BF042627
	s_nop 0                                                    // 000000004D58: BF800000
	s_cbranch_scc0 label_0DFA                                  // 000000004D5C: BF840762
	s_waitcnt lgkmcnt(0)                                       // 000000004D60: BF8CC07F
	v_mfma_f32_32x32x8_bf16 v[64:79], v[192:193], v[160:161], 0// 000000004D64: D3E00040 020341C0
	v_exp_f32_e32 v95, v95                                     // 000000004D6C: 7EBE415F
	v_mul_f32_e32 v22, v20, v22                                // 000000004D70: 0A2C2D14
	v_add_f32_e32 v38, v81, v80                                // 000000004D74: 024CA151
	v_add_f32_e32 v38, v82, v38                                // 000000004D78: 024C4D52
	v_mfma_f32_32x32x8_bf16 v[64:79], v[194:195], v[162:163], v[64:79]// 000000004D7C: D3E00040 050345C2
	v_add_f32_e32 v38, v83, v38                                // 000000004D84: 024C4D53
	v_add_f32_e32 v38, v84, v38                                // 000000004D88: 024C4D54
	v_add_f32_e32 v38, v85, v38                                // 000000004D8C: 024C4D55
	v_add_f32_e32 v38, v86, v38                                // 000000004D90: 024C4D56
	v_add_f32_e32 v38, v87, v38                                // 000000004D94: 024C4D57
	v_add_f32_e32 v38, v88, v38                                // 000000004D98: 024C4D58
	v_add_f32_e32 v38, v89, v38                                // 000000004D9C: 024C4D59
	v_mfma_f32_32x32x8_bf16 v[64:79], v[196:197], v[164:165], v[64:79]// 000000004DA0: D3E00040 050349C4
	v_add_f32_e32 v38, v90, v38                                // 000000004DA8: 024C4D5A
	v_add_f32_e32 v38, v91, v38                                // 000000004DAC: 024C4D5B
	v_add_f32_e32 v38, v92, v38                                // 000000004DB0: 024C4D5C
	v_add_f32_e32 v38, v93, v38                                // 000000004DB4: 024C4D5D
	v_add_f32_e32 v38, v94, v38                                // 000000004DB8: 024C4D5E
	v_add_f32_e32 v38, v95, v38                                // 000000004DBC: 024C4D5F
	v_add_f32_e32 v22, v38, v22                                // 000000004DC0: 022C2D26
	v_mfma_f32_32x32x8_bf16 v[64:79], v[198:199], v[166:167], v[64:79]// 000000004DC4: D3E00040 05034DC6
	v_mul_f32_e32 v96, v20, v96                                // 000000004DCC: 0AC0C114
	v_mul_f32_e32 v97, v20, v97                                // 000000004DD0: 0AC2C314
	v_mul_f32_e32 v98, v20, v98                                // 000000004DD4: 0AC4C514
	v_mul_f32_e32 v99, v20, v99                                // 000000004DD8: 0AC6C714
	v_mul_f32_e32 v100, v20, v100                              // 000000004DDC: 0AC8C914
	v_mul_f32_e32 v101, v20, v101                              // 000000004DE0: 0ACACB14
	v_mul_f32_e32 v102, v20, v102                              // 000000004DE4: 0ACCCD14
	v_mfma_f32_32x32x8_bf16 v[64:79], v[200:201], v[168:169], v[64:79]// 000000004DE8: D3E00040 050351C8
	v_mul_f32_e32 v103, v20, v103                              // 000000004DF0: 0ACECF14
	v_mul_f32_e32 v104, v20, v104                              // 000000004DF4: 0AD0D114
	v_mul_f32_e32 v105, v20, v105                              // 000000004DF8: 0AD2D314
	v_mul_f32_e32 v106, v20, v106                              // 000000004DFC: 0AD4D514
	v_mul_f32_e32 v107, v20, v107                              // 000000004E00: 0AD6D714
	v_mul_f32_e32 v108, v20, v108                              // 000000004E04: 0AD8D914
	v_mul_f32_e32 v109, v20, v109                              // 000000004E08: 0ADADB14
	v_mfma_f32_32x32x8_bf16 v[64:79], v[202:203], v[170:171], v[64:79]// 000000004E0C: D3E00040 050355CA
	v_mul_f32_e32 v110, v20, v110                              // 000000004E14: 0ADCDD14
	v_mul_f32_e32 v111, v20, v111                              // 000000004E18: 0ADEDF14
	v_mul_f32_e32 v112, v20, v112                              // 000000004E1C: 0AE0E114
	v_mul_f32_e32 v113, v20, v113                              // 000000004E20: 0AE2E314
	v_mul_f32_e32 v114, v20, v114                              // 000000004E24: 0AE4E514
	v_mul_f32_e32 v115, v20, v115                              // 000000004E28: 0AE6E714
	v_mul_f32_e32 v116, v20, v116                              // 000000004E2C: 0AE8E914
	v_mfma_f32_32x32x8_bf16 v[64:79], v[204:205], v[172:173], v[64:79]// 000000004E30: D3E00040 050359CC
	v_mul_f32_e32 v117, v20, v117                              // 000000004E38: 0AEAEB14
	v_mul_f32_e32 v118, v20, v118                              // 000000004E3C: 0AECED14
	v_mul_f32_e32 v119, v20, v119                              // 000000004E40: 0AEEEF14
	v_mul_f32_e32 v120, v20, v120                              // 000000004E44: 0AF0F114
	v_mul_f32_e32 v121, v20, v121                              // 000000004E48: 0AF2F314
	v_mul_f32_e32 v122, v20, v122                              // 000000004E4C: 0AF4F514
	v_mul_f32_e32 v123, v20, v123                              // 000000004E50: 0AF6F714
	v_mfma_f32_32x32x8_bf16 v[64:79], v[206:207], v[174:175], v[64:79]// 000000004E54: D3E00040 05035DCE
	v_mul_f32_e32 v124, v20, v124                              // 000000004E5C: 0AF8F914
	v_mul_f32_e32 v125, v20, v125                              // 000000004E60: 0AFAFB14
	v_mul_f32_e32 v126, v20, v126                              // 000000004E64: 0AFCFD14
	v_mul_f32_e32 v127, v20, v127                              // 000000004E68: 0AFEFF14
	v_mul_f32_e32 v128, v20, v128                              // 000000004E6C: 0B010114
	v_mul_f32_e32 v129, v20, v129                              // 000000004E70: 0B030314
	v_mul_f32_e32 v130, v20, v130                              // 000000004E74: 0B050514
	v_mfma_f32_32x32x8_bf16 v[64:79], v[208:209], v[176:177], v[64:79]// 000000004E78: D3E00040 050361D0
	v_mul_f32_e32 v131, v20, v131                              // 000000004E80: 0B070714
	v_mul_f32_e32 v132, v20, v132                              // 000000004E84: 0B090914
	v_mul_f32_e32 v133, v20, v133                              // 000000004E88: 0B0B0B14
	v_mul_f32_e32 v134, v20, v134                              // 000000004E8C: 0B0D0D14
	v_mul_f32_e32 v135, v20, v135                              // 000000004E90: 0B0F0F14
	v_mul_f32_e32 v136, v20, v136                              // 000000004E94: 0B111114
	v_mul_f32_e32 v137, v20, v137                              // 000000004E98: 0B131314
	v_mfma_f32_32x32x8_bf16 v[64:79], v[210:211], v[178:179], v[64:79]// 000000004E9C: D3E00040 050365D2
	v_mul_f32_e32 v138, v20, v138                              // 000000004EA4: 0B151514
	v_mul_f32_e32 v139, v20, v139                              // 000000004EA8: 0B171714
	v_mul_f32_e32 v140, v20, v140                              // 000000004EAC: 0B191914
	v_mul_f32_e32 v141, v20, v141                              // 000000004EB0: 0B1B1B14
	v_mul_f32_e32 v142, v20, v142                              // 000000004EB4: 0B1D1D14
	v_mul_f32_e32 v143, v20, v143                              // 000000004EB8: 0B1F1F14
	v_mul_f32_e32 v144, v20, v144                              // 000000004EBC: 0B212114
	v_mfma_f32_32x32x8_bf16 v[64:79], v[212:213], v[180:181], v[64:79]// 000000004EC0: D3E00040 050369D4
	v_mul_f32_e32 v145, v20, v145                              // 000000004EC8: 0B232314
	v_mul_f32_e32 v146, v20, v146                              // 000000004ECC: 0B252514
	v_mul_f32_e32 v147, v20, v147                              // 000000004ED0: 0B272714
	v_mul_f32_e32 v148, v20, v148                              // 000000004ED4: 0B292914
	v_mul_f32_e32 v149, v20, v149                              // 000000004ED8: 0B2B2B14
	v_mul_f32_e32 v150, v20, v150                              // 000000004EDC: 0B2D2D14
	v_mul_f32_e32 v151, v20, v151                              // 000000004EE0: 0B2F2F14
	v_mfma_f32_32x32x8_bf16 v[64:79], v[214:215], v[182:183], v[64:79]// 000000004EE4: D3E00040 05036DD6
	s_waitcnt vmcnt(8)                                         // 000000004EEC: BF8C0F78
	s_barrier                                                  // 000000004EF0: BF8A0000
	v_mfma_f32_32x32x8_bf16 v[64:79], v[216:217], v[184:185], v[64:79]// 000000004EF4: D3E00040 050371D8
	v_mul_f32_e32 v152, v20, v152                              // 000000004EFC: 0B313114
	v_mul_f32_e32 v153, v20, v153                              // 000000004F00: 0B333314
	v_mul_f32_e32 v154, v20, v154                              // 000000004F04: 0B353514
	v_mul_f32_e32 v155, v20, v155                              // 000000004F08: 0B373714
	v_mul_f32_e32 v156, v20, v156                              // 000000004F0C: 0B393914
	v_mul_f32_e32 v157, v20, v157                              // 000000004F10: 0B3B3B14
	v_mul_f32_e32 v158, v20, v158                              // 000000004F14: 0B3D3D14
	v_mfma_f32_32x32x8_bf16 v[64:79], v[218:219], v[186:187], v[64:79]// 000000004F18: D3E00040 050375DA
	v_mul_f32_e32 v159, v20, v159                              // 000000004F20: 0B3F3F14
	v_cmp_u_f32_e64 s[70:71], v80, v80                         // 000000004F24: D0480046 0002A150
	v_bfe_u32 v40, v80, 16, 1                                  // 000000004F2C: D1C80028 02052150
	v_add3_u32 v40, v80, v40, v43                              // 000000004F34: D1FF0028 04AE5150
	v_cndmask_b32_e64 v16, v40, v42, s[70:71]                  // 000000004F3C: D1000010 011A5528
	v_lshrrev_b32_e32 v16, 16, v16                             // 000000004F44: 20202090
	v_cmp_u_f32_e64 s[70:71], v81, v81                         // 000000004F48: D0480046 0002A351
	v_bfe_u32 v40, v81, 16, 1                                  // 000000004F50: D1C80028 02052151
	v_add3_u32 v40, v81, v40, v43                              // 000000004F58: D1FF0028 04AE5151
	v_cndmask_b32_e64 v17, v40, v42, s[70:71]                  // 000000004F60: D1000011 011A5528
	v_and_or_b32 v80, v17, v41, v16                            // 000000004F68: D2010050 04425311
	v_cmp_u_f32_e64 s[70:71], v82, v82                         // 000000004F70: D0480046 0002A552
	v_bfe_u32 v40, v82, 16, 1                                  // 000000004F78: D1C80028 02052152
	v_add3_u32 v40, v82, v40, v43                              // 000000004F80: D1FF0028 04AE5152
	v_cndmask_b32_e64 v16, v40, v42, s[70:71]                  // 000000004F88: D1000010 011A5528
	v_lshrrev_b32_e32 v16, 16, v16                             // 000000004F90: 20202090
	v_cmp_u_f32_e64 s[70:71], v83, v83                         // 000000004F94: D0480046 0002A753
	v_bfe_u32 v40, v83, 16, 1                                  // 000000004F9C: D1C80028 02052153
	v_add3_u32 v40, v83, v40, v43                              // 000000004FA4: D1FF0028 04AE5153
	v_cndmask_b32_e64 v17, v40, v42, s[70:71]                  // 000000004FAC: D1000011 011A5528
	v_and_or_b32 v81, v17, v41, v16                            // 000000004FB4: D2010051 04425311
	v_cmp_u_f32_e64 s[70:71], v84, v84                         // 000000004FBC: D0480046 0002A954
	v_bfe_u32 v40, v84, 16, 1                                  // 000000004FC4: D1C80028 02052154
	v_add3_u32 v40, v84, v40, v43                              // 000000004FCC: D1FF0028 04AE5154
	v_cndmask_b32_e64 v16, v40, v42, s[70:71]                  // 000000004FD4: D1000010 011A5528
	v_lshrrev_b32_e32 v16, 16, v16                             // 000000004FDC: 20202090
	v_cmp_u_f32_e64 s[70:71], v85, v85                         // 000000004FE0: D0480046 0002AB55
	v_bfe_u32 v40, v85, 16, 1                                  // 000000004FE8: D1C80028 02052155
	v_add3_u32 v40, v85, v40, v43                              // 000000004FF0: D1FF0028 04AE5155
	v_cndmask_b32_e64 v17, v40, v42, s[70:71]                  // 000000004FF8: D1000011 011A5528
	v_and_or_b32 v82, v17, v41, v16                            // 000000005000: D2010052 04425311
	v_mfma_f32_32x32x8_bf16 v[64:79], v[220:221], v[188:189], v[64:79]// 000000005008: D3E00040 050379DC
	v_cmp_u_f32_e64 s[70:71], v86, v86                         // 000000005010: D0480046 0002AD56
	v_bfe_u32 v40, v86, 16, 1                                  // 000000005018: D1C80028 02052156
	v_add3_u32 v40, v86, v40, v43                              // 000000005020: D1FF0028 04AE5156
	v_cndmask_b32_e64 v16, v40, v42, s[70:71]                  // 000000005028: D1000010 011A5528
	v_lshrrev_b32_e32 v16, 16, v16                             // 000000005030: 20202090
	v_cmp_u_f32_e64 s[70:71], v87, v87                         // 000000005034: D0480046 0002AF57
	v_bfe_u32 v40, v87, 16, 1                                  // 00000000503C: D1C80028 02052157
	v_add3_u32 v40, v87, v40, v43                              // 000000005044: D1FF0028 04AE5157
	v_cndmask_b32_e64 v17, v40, v42, s[70:71]                  // 00000000504C: D1000011 011A5528
	v_and_or_b32 v83, v17, v41, v16                            // 000000005054: D2010053 04425311
	v_cmp_u_f32_e64 s[70:71], v88, v88                         // 00000000505C: D0480046 0002B158
	v_bfe_u32 v40, v88, 16, 1                                  // 000000005064: D1C80028 02052158
	v_add3_u32 v40, v88, v40, v43                              // 00000000506C: D1FF0028 04AE5158
	v_cndmask_b32_e64 v16, v40, v42, s[70:71]                  // 000000005074: D1000010 011A5528
	v_lshrrev_b32_e32 v16, 16, v16                             // 00000000507C: 20202090
	v_cmp_u_f32_e64 s[70:71], v89, v89                         // 000000005080: D0480046 0002B359
	v_bfe_u32 v40, v89, 16, 1                                  // 000000005088: D1C80028 02052159
	v_add3_u32 v40, v89, v40, v43                              // 000000005090: D1FF0028 04AE5159
	v_cndmask_b32_e64 v17, v40, v42, s[70:71]                  // 000000005098: D1000011 011A5528
	v_and_or_b32 v84, v17, v41, v16                            // 0000000050A0: D2010054 04425311
	v_cmp_u_f32_e64 s[70:71], v90, v90                         // 0000000050A8: D0480046 0002B55A
	v_bfe_u32 v40, v90, 16, 1                                  // 0000000050B0: D1C80028 0205215A
	v_add3_u32 v40, v90, v40, v43                              // 0000000050B8: D1FF0028 04AE515A
	v_cndmask_b32_e64 v16, v40, v42, s[70:71]                  // 0000000050C0: D1000010 011A5528
	v_lshrrev_b32_e32 v16, 16, v16                             // 0000000050C8: 20202090
	v_cmp_u_f32_e64 s[70:71], v91, v91                         // 0000000050CC: D0480046 0002B75B
	v_bfe_u32 v40, v91, 16, 1                                  // 0000000050D4: D1C80028 0205215B
	v_add3_u32 v40, v91, v40, v43                              // 0000000050DC: D1FF0028 04AE515B
	v_cndmask_b32_e64 v17, v40, v42, s[70:71]                  // 0000000050E4: D1000011 011A5528
	v_and_or_b32 v85, v17, v41, v16                            // 0000000050EC: D2010055 04425311
	v_cmp_u_f32_e64 s[70:71], v92, v92                         // 0000000050F4: D0480046 0002B95C
	v_bfe_u32 v40, v92, 16, 1                                  // 0000000050FC: D1C80028 0205215C
	v_add3_u32 v40, v92, v40, v43                              // 000000005104: D1FF0028 04AE515C
	v_cndmask_b32_e64 v16, v40, v42, s[70:71]                  // 00000000510C: D1000010 011A5528
	v_lshrrev_b32_e32 v16, 16, v16                             // 000000005114: 20202090
	v_cmp_u_f32_e64 s[70:71], v93, v93                         // 000000005118: D0480046 0002BB5D
	v_bfe_u32 v40, v93, 16, 1                                  // 000000005120: D1C80028 0205215D
	v_add3_u32 v40, v93, v40, v43                              // 000000005128: D1FF0028 04AE515D
	v_cndmask_b32_e64 v17, v40, v42, s[70:71]                  // 000000005130: D1000011 011A5528
	v_and_or_b32 v86, v17, v41, v16                            // 000000005138: D2010056 04425311
	v_cmp_u_f32_e64 s[70:71], v94, v94                         // 000000005140: D0480046 0002BD5E
	v_bfe_u32 v40, v94, 16, 1                                  // 000000005148: D1C80028 0205215E
	v_add3_u32 v40, v94, v40, v43                              // 000000005150: D1FF0028 04AE515E
	v_cndmask_b32_e64 v16, v40, v42, s[70:71]                  // 000000005158: D1000010 011A5528
	v_lshrrev_b32_e32 v16, 16, v16                             // 000000005160: 20202090
	v_cmp_u_f32_e64 s[70:71], v95, v95                         // 000000005164: D0480046 0002BF5F
	v_bfe_u32 v40, v95, 16, 1                                  // 00000000516C: D1C80028 0205215F
	v_add3_u32 v40, v95, v40, v43                              // 000000005174: D1FF0028 04AE515F
	v_cndmask_b32_e64 v17, v40, v42, s[70:71]                  // 00000000517C: D1000011 011A5528
	v_and_or_b32 v87, v17, v41, v16                            // 000000005184: D2010057 04425311
	v_mfma_f32_32x32x8_bf16 v[64:79], v[222:223], v[190:191], v[64:79]// 00000000518C: D3E00040 05037DDE
	v_perm_b32 v232, v229, v228, s50                           // 000000005194: D1ED00E8 00CBC9E5
	v_perm_b32 v234, v229, v228, s49                           // 00000000519C: D1ED00EA 00C7C9E5
	v_perm_b32 v233, v231, v230, s50                           // 0000000051A4: D1ED00E9 00CBCDE7
	v_perm_b32 v235, v231, v230, s49                           // 0000000051AC: D1ED00EB 00C7CDE7
	s_barrier                                                  // 0000000051B4: BF8A0000
	ds_write_b64 v14, v[232:233] offset:17408                  // 0000000051B8: D89A4400 0000E80E
	ds_write_b64 v14, v[234:235] offset:21568                  // 0000000051C0: D89A5440 0000EA0E
	s_waitcnt lgkmcnt(0)                                       // 0000000051C8: BF8CC07F
	s_barrier                                                  // 0000000051CC: BF8A0000
	s_mov_b32 m0, s68                                          // 0000000051D0: BEFC0044
	ds_read_b64 v[192:193], v13 offset:17408                   // 0000000051D4: D8EC4400 C000000D
	ds_read_b64 v[194:195], v13 offset:18432                   // 0000000051DC: D8EC4800 C200000D
	ds_read_b64 v[196:197], v13 offset:19456                   // 0000000051E4: D8EC4C00 C400000D
	ds_read_b64 v[198:199], v13 offset:20480                   // 0000000051EC: D8EC5000 C600000D
	buffer_load_dword v4, s[12:15], s60 offen lds              // 0000000051F4: E0511000 3C030004
	s_add_u32 m0, 0x880, m0                                    // 0000000051FC: 807C7CFF 00000880
	ds_read_b64 v[200:201], v13 offset:17536                   // 000000005204: D8EC4480 C800000D
	ds_read_b64 v[202:203], v13 offset:18560                   // 00000000520C: D8EC4880 CA00000D
	ds_read_b64 v[204:205], v13 offset:19584                   // 000000005214: D8EC4C80 CC00000D
	ds_read_b64 v[206:207], v13 offset:20608                   // 00000000521C: D8EC5080 CE00000D
	buffer_load_dword v5, s[12:15], s60 offen lds              // 000000005224: E0511000 3C030005
	s_add_u32 m0, 0x880, m0                                    // 00000000522C: 807C7CFF 00000880
	ds_read_b64 v[208:209], v13 offset:17664                   // 000000005234: D8EC4500 D000000D
	ds_read_b64 v[210:211], v13 offset:18688                   // 00000000523C: D8EC4900 D200000D
	ds_read_b64 v[212:213], v13 offset:19712                   // 000000005244: D8EC4D00 D400000D
	ds_read_b64 v[214:215], v13 offset:20736                   // 00000000524C: D8EC5100 D600000D
	buffer_load_dword v6, s[12:15], s60 offen lds              // 000000005254: E0511000 3C030006
	s_add_u32 m0, 0x880, m0                                    // 00000000525C: 807C7CFF 00000880
	ds_read_b64 v[216:217], v13 offset:17792                   // 000000005264: D8EC4580 D800000D
	ds_read_b64 v[218:219], v13 offset:18816                   // 00000000526C: D8EC4980 DA00000D
	ds_read_b64 v[220:221], v13 offset:19840                   // 000000005274: D8EC4D80 DC00000D
	ds_read_b64 v[222:223], v13 offset:20864                   // 00000000527C: D8EC5180 DE00000D
	buffer_load_dword v7, s[12:15], s60 offen lds              // 000000005284: E0511000 3C030007
	s_add_u32 m0, 0x880, m0                                    // 00000000528C: 807C7CFF 00000880
	s_add_i32 s60, s43, s60                                    // 000000005294: 813C3C2B
	s_add_u32 s40, 0x80, s39                                   // 000000005298: 802827FF 00000080
	s_cmp_lt_u32 s40, s38                                      // 0000000052A0: BF0A2628
	s_cselect_b32 s43, s43, 0                                  // 0000000052A4: 852B802B
	s_nop 0                                                    // 0000000052A8: BF800000
	s_cmp_lt_i32 s52, s51                                      // 0000000052AC: BF043334
	s_cbranch_scc1 label_0878                                  // 0000000052B0: BF85008B
	s_sub_i32 s40, s51, s52                                    // 0000000052B4: 81A83433
	s_sub_i32 s41, s7, s30                                     // 0000000052B8: 81A91E07
	s_and_b32 s41, s41, 31                                     // 0000000052BC: 86299F29
	s_add_i32 s40, s40, s41                                    // 0000000052C0: 81282928
	v_add_i32 v16, v29, s40                                    // 0000000052C4: D29C0010 0000511D
	v_cmp_lt_i32_e64 s[72:73], v16, 0                          // 0000000052CC: D0C10048 00010110
	v_cmp_lt_i32_e64 s[74:75], v16, 1                          // 0000000052D4: D0C1004A 00010310
	v_cndmask_b32_e64 v64, v64, v31, s[72:73]                  // 0000000052DC: D1000040 01223F40
	v_cndmask_b32_e64 v65, v65, v31, s[74:75]                  // 0000000052E4: D1000041 012A3F41
	v_cmp_lt_i32_e64 s[72:73], v16, 2                          // 0000000052EC: D0C10048 00010510
	v_cmp_lt_i32_e64 s[74:75], v16, 3                          // 0000000052F4: D0C1004A 00010710
	v_cndmask_b32_e64 v66, v66, v31, s[72:73]                  // 0000000052FC: D1000042 01223F42
	v_cndmask_b32_e64 v67, v67, v31, s[74:75]                  // 000000005304: D1000043 012A3F43
	v_cmp_lt_i32_e64 s[72:73], v16, 8                          // 00000000530C: D0C10048 00011110
	v_cmp_lt_i32_e64 s[74:75], v16, 9                          // 000000005314: D0C1004A 00011310
	v_cndmask_b32_e64 v68, v68, v31, s[72:73]                  // 00000000531C: D1000044 01223F44
	v_cndmask_b32_e64 v69, v69, v31, s[74:75]                  // 000000005324: D1000045 012A3F45
	v_cmp_lt_i32_e64 s[72:73], v16, 10                         // 00000000532C: D0C10048 00011510
	v_cmp_lt_i32_e64 s[74:75], v16, 11                         // 000000005334: D0C1004A 00011710
	v_cndmask_b32_e64 v70, v70, v31, s[72:73]                  // 00000000533C: D1000046 01223F46
	v_cndmask_b32_e64 v71, v71, v31, s[74:75]                  // 000000005344: D1000047 012A3F47
	v_cmp_lt_i32_e64 s[72:73], v16, 16                         // 00000000534C: D0C10048 00012110
	v_cmp_lt_i32_e64 s[74:75], v16, 17                         // 000000005354: D0C1004A 00012310
	v_cndmask_b32_e64 v72, v72, v31, s[72:73]                  // 00000000535C: D1000048 01223F48
	v_cndmask_b32_e64 v73, v73, v31, s[74:75]                  // 000000005364: D1000049 012A3F49
	v_cmp_lt_i32_e64 s[72:73], v16, 18                         // 00000000536C: D0C10048 00012510
	v_cmp_lt_i32_e64 s[74:75], v16, 19                         // 000000005374: D0C1004A 00012710
	v_cndmask_b32_e64 v74, v74, v31, s[72:73]                  // 00000000537C: D100004A 01223F4A
	v_cndmask_b32_e64 v75, v75, v31, s[74:75]                  // 000000005384: D100004B 012A3F4B
	v_cmp_lt_i32_e64 s[72:73], v16, 24                         // 00000000538C: D0C10048 00013110
	v_cmp_lt_i32_e64 s[74:75], v16, 25                         // 000000005394: D0C1004A 00013310
	v_cndmask_b32_e64 v76, v76, v31, s[72:73]                  // 00000000539C: D100004C 01223F4C
	v_cndmask_b32_e64 v77, v77, v31, s[74:75]                  // 0000000053A4: D100004D 012A3F4D
	v_cmp_lt_i32_e64 s[72:73], v16, 26                         // 0000000053AC: D0C10048 00013510
	v_cmp_lt_i32_e64 s[74:75], v16, 27                         // 0000000053B4: D0C1004A 00013710
	v_cndmask_b32_e64 v78, v78, v31, s[72:73]                  // 0000000053BC: D100004E 01223F4E
	v_cndmask_b32_e64 v79, v79, v31, s[74:75]                  // 0000000053C4: D100004F 012A3F4F
	s_cmp_lt_i32 s52, s54                                      // 0000000053CC: BF043634
	s_cbranch_scc1 label_0878                                  // 0000000053D0: BF850043
	s_sub_i32 s40, s7, s52                                     // 0000000053D4: 81A83407
	v_sub_i32 v16, s40, v30                                    // 0000000053D8: D29D0010 00023C28
	v_cmp_lt_i32_e64 s[72:73], 0, v16                          // 0000000053E0: D0C10048 00022080
	v_cmp_lt_i32_e64 s[74:75], 1, v16                          // 0000000053E8: D0C1004A 00022081
	v_cndmask_b32_e64 v64, v31, v64, s[72:73]                  // 0000000053F0: D1000040 0122811F
	v_cndmask_b32_e64 v65, v31, v65, s[74:75]                  // 0000000053F8: D1000041 012A831F
	v_cmp_lt_i32_e64 s[72:73], 2, v16                          // 000000005400: D0C10048 00022082
	v_cmp_lt_i32_e64 s[74:75], 3, v16                          // 000000005408: D0C1004A 00022083
	v_cndmask_b32_e64 v66, v31, v66, s[72:73]                  // 000000005410: D1000042 0122851F
	v_cndmask_b32_e64 v67, v31, v67, s[74:75]                  // 000000005418: D1000043 012A871F
	v_cmp_lt_i32_e64 s[72:73], 8, v16                          // 000000005420: D0C10048 00022088
	v_cmp_lt_i32_e64 s[74:75], 9, v16                          // 000000005428: D0C1004A 00022089
	v_cndmask_b32_e64 v68, v31, v68, s[72:73]                  // 000000005430: D1000044 0122891F
	v_cndmask_b32_e64 v69, v31, v69, s[74:75]                  // 000000005438: D1000045 012A8B1F
	v_cmp_lt_i32_e64 s[72:73], 10, v16                         // 000000005440: D0C10048 0002208A
	v_cmp_lt_i32_e64 s[74:75], 11, v16                         // 000000005448: D0C1004A 0002208B
	v_cndmask_b32_e64 v70, v31, v70, s[72:73]                  // 000000005450: D1000046 01228D1F
	v_cndmask_b32_e64 v71, v31, v71, s[74:75]                  // 000000005458: D1000047 012A8F1F
	v_cmp_lt_i32_e64 s[72:73], 16, v16                         // 000000005460: D0C10048 00022090
	v_cmp_lt_i32_e64 s[74:75], 17, v16                         // 000000005468: D0C1004A 00022091
	v_cndmask_b32_e64 v72, v31, v72, s[72:73]                  // 000000005470: D1000048 0122911F
	v_cndmask_b32_e64 v73, v31, v73, s[74:75]                  // 000000005478: D1000049 012A931F
	v_cmp_lt_i32_e64 s[72:73], 18, v16                         // 000000005480: D0C10048 00022092
	v_cmp_lt_i32_e64 s[74:75], 19, v16                         // 000000005488: D0C1004A 00022093
	v_cndmask_b32_e64 v74, v31, v74, s[72:73]                  // 000000005490: D100004A 0122951F
	v_cndmask_b32_e64 v75, v31, v75, s[74:75]                  // 000000005498: D100004B 012A971F
	v_cmp_lt_i32_e64 s[72:73], 24, v16                         // 0000000054A0: D0C10048 00022098
	v_cmp_lt_i32_e64 s[74:75], 25, v16                         // 0000000054A8: D0C1004A 00022099
	v_cndmask_b32_e64 v76, v31, v76, s[72:73]                  // 0000000054B0: D100004C 0122991F
	v_cndmask_b32_e64 v77, v31, v77, s[74:75]                  // 0000000054B8: D100004D 012A9B1F
	v_cmp_lt_i32_e64 s[72:73], 26, v16                         // 0000000054C0: D0C10048 0002209A
	v_cmp_lt_i32_e64 s[74:75], 27, v16                         // 0000000054C8: D0C1004A 0002209B
	v_cndmask_b32_e64 v78, v31, v78, s[72:73]                  // 0000000054D0: D100004E 01229D1F
	v_cndmask_b32_e64 v79, v31, v79, s[74:75]                  // 0000000054D8: D100004F 012A9F1F

00000000000054e0 <label_0878>:
	s_waitcnt lgkmcnt(0)                                       // 0000000054E0: BF8CC07F
	s_barrier                                                  // 0000000054E4: BF8A0000
	v_mfma_f32_32x32x8_bf16 v[96:111], v[192:193], v[80:81], v[96:111]// 0000000054E8: D3E00060 0582A1C0
	v_max3_f32 v25, v64, v65, v28                              // 0000000054F0: D1D30019 04728340
	v_max3_f32 v25, v66, v67, v25                              // 0000000054F8: D1D30019 04668742
	v_max3_f32 v25, v68, v69, v25                              // 000000005500: D1D30019 04668B44
	v_max3_f32 v25, v70, v71, v25                              // 000000005508: D1D30019 04668F46
	v_max3_f32 v25, v72, v73, v25                              // 000000005510: D1D30019 04669348
	v_max3_f32 v25, v74, v75, v25                              // 000000005518: D1D30019 0466974A
	v_max3_f32 v25, v76, v77, v25                              // 000000005520: D1D30019 04669B4C
	v_mfma_f32_32x32x8_bf16 v[96:111], v[194:195], v[82:83], v[96:111]// 000000005528: D3E00060 0582A5C2
	v_max3_f32 v25, v78, v79, v25                              // 000000005530: D1D30019 04669F4E
	ds_permute_b32 v24, v32, v25                               // 000000005538: D87C0000 18001920
	v_mfma_f32_32x32x8_bf16 v[96:111], v[196:197], v[84:85], v[96:111]// 000000005540: D3E00060 0582A9C4
	v_nop                                                      // 000000005548: 7E000000
	s_nop 0                                                    // 00000000554C: BF800000
	v_mfma_f32_32x32x8_bf16 v[96:111], v[198:199], v[86:87], v[96:111]// 000000005550: D3E00060 0582ADC6
	v_nop                                                      // 000000005558: 7E000000
	v_mfma_f32_32x32x8_bf16 v[112:127], v[200:201], v[80:81], v[112:127]// 00000000555C: D3E00070 05C2A1C8
	s_waitcnt lgkmcnt(0)                                       // 000000005564: BF8CC07F
	v_max_f32_e32 v25, v24, v25                                // 000000005568: 16323318
	v_sub_f32_e32 v20, v28, v25                                // 00000000556C: 0428331C
	v_mov_b32_e32 v28, v25                                     // 000000005570: 7E380319
	v_mul_f32_e32 v27, s56, v25                                // 000000005574: 0A363238
	v_mul_f32_e32 v20, s56, v20                                // 000000005578: 0A282838
	v_mfma_f32_32x32x8_bf16 v[112:127], v[202:203], v[82:83], v[112:127]// 00000000557C: D3E00070 05C2A5CA
	v_exp_f32_e32 v20, v20                                     // 000000005584: 7E284114
	v_fma_f32 v64, v64, s56, -v27                              // 000000005588: D1CB0040 846C7140
	v_fma_f32 v65, v65, s56, -v27                              // 000000005590: D1CB0041 846C7141
	v_fma_f32 v66, v66, s56, -v27                              // 000000005598: D1CB0042 846C7142
	v_mfma_f32_32x32x8_bf16 v[112:127], v[204:205], v[84:85], v[112:127]// 0000000055A0: D3E00070 05C2A9CC
	v_fma_f32 v67, v67, s56, -v27                              // 0000000055A8: D1CB0043 846C7143
	v_fma_f32 v68, v68, s56, -v27                              // 0000000055B0: D1CB0044 846C7144
	v_fma_f32 v69, v69, s56, -v27                              // 0000000055B8: D1CB0045 846C7145
	v_fma_f32 v70, v70, s56, -v27                              // 0000000055C0: D1CB0046 846C7146
	v_fma_f32 v71, v71, s56, -v27                              // 0000000055C8: D1CB0047 846C7147
	v_fma_f32 v72, v72, s56, -v27                              // 0000000055D0: D1CB0048 846C7148
	v_fma_f32 v73, v73, s56, -v27                              // 0000000055D8: D1CB0049 846C7149
	v_mfma_f32_32x32x8_bf16 v[112:127], v[206:207], v[86:87], v[112:127]// 0000000055E0: D3E00070 05C2ADCE
	v_fma_f32 v74, v74, s56, -v27                              // 0000000055E8: D1CB004A 846C714A
	v_fma_f32 v75, v75, s56, -v27                              // 0000000055F0: D1CB004B 846C714B
	v_fma_f32 v76, v76, s56, -v27                              // 0000000055F8: D1CB004C 846C714C
	v_fma_f32 v77, v77, s56, -v27                              // 000000005600: D1CB004D 846C714D
	v_fma_f32 v78, v78, s56, -v27                              // 000000005608: D1CB004E 846C714E
	v_fma_f32 v79, v79, s56, -v27                              // 000000005610: D1CB004F 846C714F
	v_exp_f32_e32 v64, v64                                     // 000000005618: 7E804140
	v_mfma_f32_32x32x8_bf16 v[128:143], v[208:209], v[80:81], v[128:143]// 00000000561C: D3E00080 0602A1D0
	v_exp_f32_e32 v65, v65                                     // 000000005624: 7E824141
	v_exp_f32_e32 v66, v66                                     // 000000005628: 7E844142
	v_mfma_f32_32x32x8_bf16 v[128:143], v[210:211], v[82:83], v[128:143]// 00000000562C: D3E00080 0602A5D2
	v_exp_f32_e32 v67, v67                                     // 000000005634: 7E864143
	v_exp_f32_e32 v68, v68                                     // 000000005638: 7E884144
	v_mfma_f32_32x32x8_bf16 v[128:143], v[212:213], v[84:85], v[128:143]// 00000000563C: D3E00080 0602A9D4
	v_exp_f32_e32 v69, v69                                     // 000000005644: 7E8A4145
	v_exp_f32_e32 v70, v70                                     // 000000005648: 7E8C4146
	v_mfma_f32_32x32x8_bf16 v[128:143], v[214:215], v[86:87], v[128:143]// 00000000564C: D3E00080 0602ADD6
	v_exp_f32_e32 v71, v71                                     // 000000005654: 7E8E4147
	v_exp_f32_e32 v72, v72                                     // 000000005658: 7E904148
	v_mfma_f32_32x32x8_bf16 v[144:159], v[216:217], v[80:81], v[144:159]// 00000000565C: D3E00090 0642A1D8
	v_exp_f32_e32 v73, v73                                     // 000000005664: 7E924149
	v_exp_f32_e32 v74, v74                                     // 000000005668: 7E94414A
	v_mfma_f32_32x32x8_bf16 v[144:159], v[218:219], v[82:83], v[144:159]// 00000000566C: D3E00090 0642A5DA
	v_exp_f32_e32 v75, v75                                     // 000000005674: 7E96414B
	v_exp_f32_e32 v76, v76                                     // 000000005678: 7E98414C
	v_mfma_f32_32x32x8_bf16 v[144:159], v[220:221], v[84:85], v[144:159]// 00000000567C: D3E00090 0642A9DC
	v_exp_f32_e32 v77, v77                                     // 000000005684: 7E9A414D
	v_exp_f32_e32 v78, v78                                     // 000000005688: 7E9C414E
	v_mfma_f32_32x32x8_bf16 v[144:159], v[222:223], v[86:87], v[144:159]// 00000000568C: D3E00090 0642ADDE
	s_nop 0                                                    // 000000005694: BF800000
	s_waitcnt vmcnt(8)                                         // 000000005698: BF8C0F78
	s_barrier                                                  // 00000000569C: BF8A0000
	s_nop 11                                                   // 0000000056A0: BF80000B
	s_nop 11                                                   // 0000000056A4: BF80000B
	ds_read_b128 v[192:195], v12 offset:8704                   // 0000000056A8: D9FE2200 C000000C
	ds_read_b128 v[196:199], v12 offset:8736                   // 0000000056B0: D9FE2220 C400000C
	ds_read_b128 v[200:203], v12 offset:8768                   // 0000000056B8: D9FE2240 C800000C
	ds_read_b128 v[204:207], v12 offset:8800                   // 0000000056C0: D9FE2260 CC00000C
	s_nop 15                                                   // 0000000056C8: BF80000F
	s_nop 15                                                   // 0000000056CC: BF80000F
	s_nop 10                                                   // 0000000056D0: BF80000A
	buffer_load_dword v228, v8, s[16:19], s35 offen            // 0000000056D4: E0501000 2304E408
	ds_read_b128 v[208:211], v12 offset:8832                   // 0000000056DC: D9FE2280 D000000C
	ds_read_b128 v[212:215], v12 offset:8864                   // 0000000056E4: D9FE22A0 D400000C
	buffer_load_dword v229, v9, s[16:19], s35 offen            // 0000000056EC: E0501000 2304E509
	ds_read_b128 v[216:219], v12 offset:8896                   // 0000000056F4: D9FE22C0 D800000C
	ds_read_b128 v[220:223], v12 offset:8928                   // 0000000056FC: D9FE22E0 DC00000C
	buffer_load_dword v230, v10, s[16:19], s35 offen           // 000000005704: E0501000 2304E60A
	buffer_load_dword v231, v11, s[16:19], s35 offen           // 00000000570C: E0501000 2304E70B
	s_add_i32 s35, s44, s35                                    // 000000005714: 8123232C
	s_add_u32 s40, 0x60, s39                                   // 000000005718: 802827FF 00000060
	s_nop 0                                                    // 000000005720: BF800000
	s_cmp_lt_u32 s40, s38                                      // 000000005724: BF0A2628
	s_cselect_b32 s44, s44, 0                                  // 000000005728: 852C802C
	s_add_i32 s52, s52, s53                                    // 00000000572C: 81343534
	s_addk_i32 s39, 0x20                                       // 000000005730: B7270020
	s_cmp_lt_i32 s39, s38                                      // 000000005734: BF042627
	s_nop 0                                                    // 000000005738: BF800000
	s_cbranch_scc0 label_0DFA                                  // 00000000573C: BF8404EA
	s_branch label_0421                                        // 000000005740: BF82FB10

0000000000005744 <label_0911>:
	s_setprio 1                                                // 000000005744: BF8F0001
	s_barrier                                                  // 000000005748: BF8A0000

000000000000574c <label_0913>:
	buffer_load_dword v228, v8, s[16:19], s35 offen            // 00000000574C: E0501000 2304E408
	ds_read_b128 v[192:195], v12 offset:8704                   // 000000005754: D9FE2200 C000000C
	ds_read_b128 v[196:199], v12 offset:8736                   // 00000000575C: D9FE2220 C400000C
	buffer_load_dword v229, v9, s[16:19], s35 offen            // 000000005764: E0501000 2304E509
	ds_read_b128 v[200:203], v12 offset:8768                   // 00000000576C: D9FE2240 C800000C
	ds_read_b128 v[204:207], v12 offset:8800                   // 000000005774: D9FE2260 CC00000C
	buffer_load_dword v230, v10, s[16:19], s35 offen           // 00000000577C: E0501000 2304E60A
	ds_read_b128 v[208:211], v12 offset:8832                   // 000000005784: D9FE2280 D000000C
	ds_read_b128 v[212:215], v12 offset:8864                   // 00000000578C: D9FE22A0 D400000C
	buffer_load_dword v231, v11, s[16:19], s35 offen           // 000000005794: E0501000 2304E70B
	ds_read_b128 v[216:219], v12 offset:8896                   // 00000000579C: D9FE22C0 D800000C
	ds_read_b128 v[220:223], v12 offset:8928                   // 0000000057A4: D9FE22E0 DC00000C
	s_add_i32 s35, s44, s35                                    // 0000000057AC: 8123232C
	s_add_u32 s40, 64, s39                                     // 0000000057B0: 802827C0
	s_nop 0                                                    // 0000000057B4: BF800000
	s_cmp_lt_u32 s40, s38                                      // 0000000057B8: BF0A2628
	s_cselect_b32 s44, s44, 0                                  // 0000000057BC: 852C802C
	s_waitcnt vmcnt(8) lgkmcnt(0)                              // 0000000057C0: BF8C0078
	s_barrier                                                  // 0000000057C4: BF8A0000
	v_perm_b32 v232, v225, v224, s50                           // 0000000057C8: D1ED00E8 00CBC1E1
	v_perm_b32 v234, v225, v224, s49                           // 0000000057D0: D1ED00EA 00C7C1E1
	v_perm_b32 v233, v227, v226, s50                           // 0000000057D8: D1ED00E9 00CBC5E3
	v_perm_b32 v235, v227, v226, s49                           // 0000000057E0: D1ED00EB 00C7C5E3
	ds_write_b64 v14, v[232:233] offset:17408                  // 0000000057E8: D89A4400 0000E80E
	ds_write_b64 v14, v[234:235] offset:21568                  // 0000000057F0: D89A5440 0000EA0E
	s_nop 0                                                    // 0000000057F8: BF800000
	s_barrier                                                  // 0000000057FC: BF8A0000
	v_mfma_f32_32x32x8_bf16 v[80:95], v[192:193], v[160:161], 0// 000000005800: D3E00050 020341C0
	v_exp_f32_e32 v79, v79                                     // 000000005808: 7E9E414F
	v_mul_f32_e32 v22, v20, v22                                // 00000000580C: 0A2C2D14
	v_add_f32_e32 v38, v65, v64                                // 000000005810: 024C8141
	v_add_f32_e32 v38, v66, v38                                // 000000005814: 024C4D42
	v_mfma_f32_32x32x8_bf16 v[80:95], v[194:195], v[162:163], v[80:95]// 000000005818: D3E00050 054345C2
	v_add_f32_e32 v38, v67, v38                                // 000000005820: 024C4D43
	v_add_f32_e32 v38, v68, v38                                // 000000005824: 024C4D44
	v_add_f32_e32 v38, v69, v38                                // 000000005828: 024C4D45
	v_add_f32_e32 v38, v70, v38                                // 00000000582C: 024C4D46
	v_add_f32_e32 v38, v71, v38                                // 000000005830: 024C4D47
	v_add_f32_e32 v38, v72, v38                                // 000000005834: 024C4D48
	v_add_f32_e32 v38, v73, v38                                // 000000005838: 024C4D49
	v_mfma_f32_32x32x8_bf16 v[80:95], v[196:197], v[164:165], v[80:95]// 00000000583C: D3E00050 054349C4
	v_add_f32_e32 v38, v74, v38                                // 000000005844: 024C4D4A
	v_add_f32_e32 v38, v75, v38                                // 000000005848: 024C4D4B
	v_add_f32_e32 v38, v76, v38                                // 00000000584C: 024C4D4C
	v_add_f32_e32 v38, v77, v38                                // 000000005850: 024C4D4D
	v_add_f32_e32 v38, v78, v38                                // 000000005854: 024C4D4E
	v_add_f32_e32 v38, v79, v38                                // 000000005858: 024C4D4F
	v_add_f32_e32 v22, v38, v22                                // 00000000585C: 022C2D26
	v_mfma_f32_32x32x8_bf16 v[80:95], v[198:199], v[166:167], v[80:95]// 000000005860: D3E00050 05434DC6
	s_waitcnt lgkmcnt(0)                                       // 000000005868: BF8CC07F
	s_barrier                                                  // 00000000586C: BF8A0000
	v_mfma_f32_32x32x8_bf16 v[80:95], v[200:201], v[168:169], v[80:95]// 000000005870: D3E00050 054351C8
	v_mul_f32_e32 v96, v20, v96                                // 000000005878: 0AC0C114
	v_mul_f32_e32 v97, v20, v97                                // 00000000587C: 0AC2C314
	v_mul_f32_e32 v98, v20, v98                                // 000000005880: 0AC4C514
	v_mul_f32_e32 v99, v20, v99                                // 000000005884: 0AC6C714
	v_mul_f32_e32 v100, v20, v100                              // 000000005888: 0AC8C914
	v_mul_f32_e32 v101, v20, v101                              // 00000000588C: 0ACACB14
	v_mul_f32_e32 v102, v20, v102                              // 000000005890: 0ACCCD14
	v_mfma_f32_32x32x8_bf16 v[80:95], v[202:203], v[170:171], v[80:95]// 000000005894: D3E00050 054355CA
	v_mul_f32_e32 v103, v20, v103                              // 00000000589C: 0ACECF14
	v_mul_f32_e32 v104, v20, v104                              // 0000000058A0: 0AD0D114
	v_mul_f32_e32 v105, v20, v105                              // 0000000058A4: 0AD2D314
	v_mul_f32_e32 v106, v20, v106                              // 0000000058A8: 0AD4D514
	v_mul_f32_e32 v107, v20, v107                              // 0000000058AC: 0AD6D714
	v_mul_f32_e32 v108, v20, v108                              // 0000000058B0: 0AD8D914
	v_mul_f32_e32 v109, v20, v109                              // 0000000058B4: 0ADADB14
	v_mfma_f32_32x32x8_bf16 v[80:95], v[204:205], v[172:173], v[80:95]// 0000000058B8: D3E00050 054359CC
	v_mul_f32_e32 v110, v20, v110                              // 0000000058C0: 0ADCDD14
	v_mul_f32_e32 v111, v20, v111                              // 0000000058C4: 0ADEDF14
	v_mul_f32_e32 v112, v20, v112                              // 0000000058C8: 0AE0E114
	v_mul_f32_e32 v113, v20, v113                              // 0000000058CC: 0AE2E314
	v_mul_f32_e32 v114, v20, v114                              // 0000000058D0: 0AE4E514
	v_mul_f32_e32 v115, v20, v115                              // 0000000058D4: 0AE6E714
	v_mul_f32_e32 v116, v20, v116                              // 0000000058D8: 0AE8E914
	v_mfma_f32_32x32x8_bf16 v[80:95], v[206:207], v[174:175], v[80:95]// 0000000058DC: D3E00050 05435DCE
	v_mul_f32_e32 v117, v20, v117                              // 0000000058E4: 0AEAEB14
	v_mul_f32_e32 v118, v20, v118                              // 0000000058E8: 0AECED14
	v_mul_f32_e32 v119, v20, v119                              // 0000000058EC: 0AEEEF14
	v_mul_f32_e32 v120, v20, v120                              // 0000000058F0: 0AF0F114
	v_mul_f32_e32 v121, v20, v121                              // 0000000058F4: 0AF2F314
	v_mul_f32_e32 v122, v20, v122                              // 0000000058F8: 0AF4F514
	v_mul_f32_e32 v123, v20, v123                              // 0000000058FC: 0AF6F714
	v_mfma_f32_32x32x8_bf16 v[80:95], v[208:209], v[176:177], v[80:95]// 000000005900: D3E00050 054361D0
	v_mul_f32_e32 v124, v20, v124                              // 000000005908: 0AF8F914
	v_mul_f32_e32 v125, v20, v125                              // 00000000590C: 0AFAFB14
	v_mul_f32_e32 v126, v20, v126                              // 000000005910: 0AFCFD14
	v_mul_f32_e32 v127, v20, v127                              // 000000005914: 0AFEFF14
	v_mul_f32_e32 v128, v20, v128                              // 000000005918: 0B010114
	v_mul_f32_e32 v129, v20, v129                              // 00000000591C: 0B030314
	v_mul_f32_e32 v130, v20, v130                              // 000000005920: 0B050514
	v_mfma_f32_32x32x8_bf16 v[80:95], v[210:211], v[178:179], v[80:95]// 000000005924: D3E00050 054365D2
	v_mul_f32_e32 v131, v20, v131                              // 00000000592C: 0B070714
	v_mul_f32_e32 v132, v20, v132                              // 000000005930: 0B090914
	v_mul_f32_e32 v133, v20, v133                              // 000000005934: 0B0B0B14
	v_mul_f32_e32 v134, v20, v134                              // 000000005938: 0B0D0D14
	v_mul_f32_e32 v135, v20, v135                              // 00000000593C: 0B0F0F14
	v_mul_f32_e32 v136, v20, v136                              // 000000005940: 0B111114
	v_mul_f32_e32 v137, v20, v137                              // 000000005944: 0B131314
	v_mfma_f32_32x32x8_bf16 v[80:95], v[212:213], v[180:181], v[80:95]// 000000005948: D3E00050 054369D4
	v_mul_f32_e32 v138, v20, v138                              // 000000005950: 0B151514
	v_mul_f32_e32 v139, v20, v139                              // 000000005954: 0B171714
	v_mul_f32_e32 v140, v20, v140                              // 000000005958: 0B191914
	v_mul_f32_e32 v141, v20, v141                              // 00000000595C: 0B1B1B14
	v_mul_f32_e32 v142, v20, v142                              // 000000005960: 0B1D1D14
	v_mul_f32_e32 v143, v20, v143                              // 000000005964: 0B1F1F14
	v_mul_f32_e32 v144, v20, v144                              // 000000005968: 0B212114
	v_mfma_f32_32x32x8_bf16 v[80:95], v[214:215], v[182:183], v[80:95]// 00000000596C: D3E00050 05436DD6
	v_mul_f32_e32 v145, v20, v145                              // 000000005974: 0B232314
	v_mul_f32_e32 v146, v20, v146                              // 000000005978: 0B252514
	v_mul_f32_e32 v147, v20, v147                              // 00000000597C: 0B272714
	v_mul_f32_e32 v148, v20, v148                              // 000000005980: 0B292914
	v_mul_f32_e32 v149, v20, v149                              // 000000005984: 0B2B2B14
	v_mul_f32_e32 v150, v20, v150                              // 000000005988: 0B2D2D14
	v_mul_f32_e32 v151, v20, v151                              // 00000000598C: 0B2F2F14
	v_mfma_f32_32x32x8_bf16 v[80:95], v[216:217], v[184:185], v[80:95]// 000000005990: D3E00050 054371D8
	v_mul_f32_e32 v152, v20, v152                              // 000000005998: 0B313114
	v_mul_f32_e32 v153, v20, v153                              // 00000000599C: 0B333314
	v_mul_f32_e32 v154, v20, v154                              // 0000000059A0: 0B353514
	v_mul_f32_e32 v155, v20, v155                              // 0000000059A4: 0B373714
	v_mul_f32_e32 v156, v20, v156                              // 0000000059A8: 0B393914
	v_mul_f32_e32 v157, v20, v157                              // 0000000059AC: 0B3B3B14
	v_mul_f32_e32 v158, v20, v158                              // 0000000059B0: 0B3D3D14
	v_mfma_f32_32x32x8_bf16 v[80:95], v[218:219], v[186:187], v[80:95]// 0000000059B4: D3E00050 054375DA
	v_mul_f32_e32 v159, v20, v159                              // 0000000059BC: 0B3F3F14
	v_cmp_u_f32_e64 s[70:71], v64, v64                         // 0000000059C0: D0480046 00028140
	v_bfe_u32 v40, v64, 16, 1                                  // 0000000059C8: D1C80028 02052140
	v_add3_u32 v40, v64, v40, v43                              // 0000000059D0: D1FF0028 04AE5140
	v_cndmask_b32_e64 v16, v40, v42, s[70:71]                  // 0000000059D8: D1000010 011A5528
	v_lshrrev_b32_e32 v16, 16, v16                             // 0000000059E0: 20202090
	v_cmp_u_f32_e64 s[70:71], v65, v65                         // 0000000059E4: D0480046 00028341
	v_bfe_u32 v40, v65, 16, 1                                  // 0000000059EC: D1C80028 02052141
	v_add3_u32 v40, v65, v40, v43                              // 0000000059F4: D1FF0028 04AE5141
	v_cndmask_b32_e64 v17, v40, v42, s[70:71]                  // 0000000059FC: D1000011 011A5528
	v_and_or_b32 v64, v17, v41, v16                            // 000000005A04: D2010040 04425311
	v_cmp_u_f32_e64 s[70:71], v66, v66                         // 000000005A0C: D0480046 00028542
	v_bfe_u32 v40, v66, 16, 1                                  // 000000005A14: D1C80028 02052142
	v_add3_u32 v40, v66, v40, v43                              // 000000005A1C: D1FF0028 04AE5142
	v_cndmask_b32_e64 v16, v40, v42, s[70:71]                  // 000000005A24: D1000010 011A5528
	v_lshrrev_b32_e32 v16, 16, v16                             // 000000005A2C: 20202090
	v_cmp_u_f32_e64 s[70:71], v67, v67                         // 000000005A30: D0480046 00028743
	v_bfe_u32 v40, v67, 16, 1                                  // 000000005A38: D1C80028 02052143
	v_add3_u32 v40, v67, v40, v43                              // 000000005A40: D1FF0028 04AE5143
	v_cndmask_b32_e64 v17, v40, v42, s[70:71]                  // 000000005A48: D1000011 011A5528
	v_and_or_b32 v65, v17, v41, v16                            // 000000005A50: D2010041 04425311
	v_cmp_u_f32_e64 s[70:71], v68, v68                         // 000000005A58: D0480046 00028944
	v_bfe_u32 v40, v68, 16, 1                                  // 000000005A60: D1C80028 02052144
	v_add3_u32 v40, v68, v40, v43                              // 000000005A68: D1FF0028 04AE5144
	v_cndmask_b32_e64 v16, v40, v42, s[70:71]                  // 000000005A70: D1000010 011A5528
	v_lshrrev_b32_e32 v16, 16, v16                             // 000000005A78: 20202090
	v_cmp_u_f32_e64 s[70:71], v69, v69                         // 000000005A7C: D0480046 00028B45
	v_bfe_u32 v40, v69, 16, 1                                  // 000000005A84: D1C80028 02052145
	v_add3_u32 v40, v69, v40, v43                              // 000000005A8C: D1FF0028 04AE5145
	v_cndmask_b32_e64 v17, v40, v42, s[70:71]                  // 000000005A94: D1000011 011A5528
	v_and_or_b32 v66, v17, v41, v16                            // 000000005A9C: D2010042 04425311
	v_cmp_u_f32_e64 s[70:71], v70, v70                         // 000000005AA4: D0480046 00028D46
	v_bfe_u32 v40, v70, 16, 1                                  // 000000005AAC: D1C80028 02052146
	v_add3_u32 v40, v70, v40, v43                              // 000000005AB4: D1FF0028 04AE5146
	v_cndmask_b32_e64 v16, v40, v42, s[70:71]                  // 000000005ABC: D1000010 011A5528
	v_lshrrev_b32_e32 v16, 16, v16                             // 000000005AC4: 20202090
	v_cmp_u_f32_e64 s[70:71], v71, v71                         // 000000005AC8: D0480046 00028F47
	v_bfe_u32 v40, v71, 16, 1                                  // 000000005AD0: D1C80028 02052147
	v_add3_u32 v40, v71, v40, v43                              // 000000005AD8: D1FF0028 04AE5147
	v_cndmask_b32_e64 v17, v40, v42, s[70:71]                  // 000000005AE0: D1000011 011A5528
	v_and_or_b32 v67, v17, v41, v16                            // 000000005AE8: D2010043 04425311
	v_cmp_u_f32_e64 s[70:71], v72, v72                         // 000000005AF0: D0480046 00029148
	v_bfe_u32 v40, v72, 16, 1                                  // 000000005AF8: D1C80028 02052148
	v_add3_u32 v40, v72, v40, v43                              // 000000005B00: D1FF0028 04AE5148
	v_cndmask_b32_e64 v16, v40, v42, s[70:71]                  // 000000005B08: D1000010 011A5528
	v_lshrrev_b32_e32 v16, 16, v16                             // 000000005B10: 20202090
	v_cmp_u_f32_e64 s[70:71], v73, v73                         // 000000005B14: D0480046 00029349
	v_bfe_u32 v40, v73, 16, 1                                  // 000000005B1C: D1C80028 02052149
	v_add3_u32 v40, v73, v40, v43                              // 000000005B24: D1FF0028 04AE5149
	v_cndmask_b32_e64 v17, v40, v42, s[70:71]                  // 000000005B2C: D1000011 011A5528
	v_and_or_b32 v68, v17, v41, v16                            // 000000005B34: D2010044 04425311
	v_cmp_u_f32_e64 s[70:71], v74, v74                         // 000000005B3C: D0480046 0002954A
	v_bfe_u32 v40, v74, 16, 1                                  // 000000005B44: D1C80028 0205214A
	v_add3_u32 v40, v74, v40, v43                              // 000000005B4C: D1FF0028 04AE514A
	v_cndmask_b32_e64 v16, v40, v42, s[70:71]                  // 000000005B54: D1000010 011A5528
	v_lshrrev_b32_e32 v16, 16, v16                             // 000000005B5C: 20202090
	v_cmp_u_f32_e64 s[70:71], v75, v75                         // 000000005B60: D0480046 0002974B
	v_bfe_u32 v40, v75, 16, 1                                  // 000000005B68: D1C80028 0205214B
	v_add3_u32 v40, v75, v40, v43                              // 000000005B70: D1FF0028 04AE514B
	v_cndmask_b32_e64 v17, v40, v42, s[70:71]                  // 000000005B78: D1000011 011A5528
	v_and_or_b32 v69, v17, v41, v16                            // 000000005B80: D2010045 04425311
	v_mfma_f32_32x32x8_bf16 v[80:95], v[220:221], v[188:189], v[80:95]// 000000005B88: D3E00050 054379DC
	v_cmp_u_f32_e64 s[70:71], v76, v76                         // 000000005B90: D0480046 0002994C
	v_bfe_u32 v40, v76, 16, 1                                  // 000000005B98: D1C80028 0205214C
	v_add3_u32 v40, v76, v40, v43                              // 000000005BA0: D1FF0028 04AE514C
	v_cndmask_b32_e64 v16, v40, v42, s[70:71]                  // 000000005BA8: D1000010 011A5528
	v_lshrrev_b32_e32 v16, 16, v16                             // 000000005BB0: 20202090
	v_cmp_u_f32_e64 s[70:71], v77, v77                         // 000000005BB4: D0480046 00029B4D
	v_bfe_u32 v40, v77, 16, 1                                  // 000000005BBC: D1C80028 0205214D
	v_add3_u32 v40, v77, v40, v43                              // 000000005BC4: D1FF0028 04AE514D
	v_cndmask_b32_e64 v17, v40, v42, s[70:71]                  // 000000005BCC: D1000011 011A5528
	v_and_or_b32 v70, v17, v41, v16                            // 000000005BD4: D2010046 04425311
	v_cmp_u_f32_e64 s[70:71], v78, v78                         // 000000005BDC: D0480046 00029D4E
	v_bfe_u32 v40, v78, 16, 1                                  // 000000005BE4: D1C80028 0205214E
	v_add3_u32 v40, v78, v40, v43                              // 000000005BEC: D1FF0028 04AE514E
	v_cndmask_b32_e64 v16, v40, v42, s[70:71]                  // 000000005BF4: D1000010 011A5528
	v_lshrrev_b32_e32 v16, 16, v16                             // 000000005BFC: 20202090
	v_cmp_u_f32_e64 s[70:71], v79, v79                         // 000000005C00: D0480046 00029F4F
	v_bfe_u32 v40, v79, 16, 1                                  // 000000005C08: D1C80028 0205214F
	v_add3_u32 v40, v79, v40, v43                              // 000000005C10: D1FF0028 04AE514F
	v_cndmask_b32_e64 v17, v40, v42, s[70:71]                  // 000000005C18: D1000011 011A5528
	v_and_or_b32 v71, v17, v41, v16                            // 000000005C20: D2010047 04425311
	v_mfma_f32_32x32x8_bf16 v[80:95], v[222:223], v[190:191], v[80:95]// 000000005C28: D3E00050 05437DDE
	s_barrier                                                  // 000000005C30: BF8A0000
	s_cmp_lt_i32 s52, s51                                      // 000000005C34: BF043334
	s_cbranch_scc1 label_0ADA                                  // 000000005C38: BF85008B
	s_sub_i32 s40, s51, s52                                    // 000000005C3C: 81A83433
	s_sub_i32 s41, s7, s30                                     // 000000005C40: 81A91E07
	s_and_b32 s41, s41, 31                                     // 000000005C44: 86299F29
	s_add_i32 s40, s40, s41                                    // 000000005C48: 81282928
	v_add_i32 v16, v29, s40                                    // 000000005C4C: D29C0010 0000511D
	v_cmp_lt_i32_e64 s[72:73], v16, 0                          // 000000005C54: D0C10048 00010110
	v_cmp_lt_i32_e64 s[74:75], v16, 1                          // 000000005C5C: D0C1004A 00010310
	v_cndmask_b32_e64 v80, v80, v31, s[72:73]                  // 000000005C64: D1000050 01223F50
	v_cndmask_b32_e64 v81, v81, v31, s[74:75]                  // 000000005C6C: D1000051 012A3F51
	v_cmp_lt_i32_e64 s[72:73], v16, 2                          // 000000005C74: D0C10048 00010510
	v_cmp_lt_i32_e64 s[74:75], v16, 3                          // 000000005C7C: D0C1004A 00010710
	v_cndmask_b32_e64 v82, v82, v31, s[72:73]                  // 000000005C84: D1000052 01223F52
	v_cndmask_b32_e64 v83, v83, v31, s[74:75]                  // 000000005C8C: D1000053 012A3F53
	v_cmp_lt_i32_e64 s[72:73], v16, 8                          // 000000005C94: D0C10048 00011110
	v_cmp_lt_i32_e64 s[74:75], v16, 9                          // 000000005C9C: D0C1004A 00011310
	v_cndmask_b32_e64 v84, v84, v31, s[72:73]                  // 000000005CA4: D1000054 01223F54
	v_cndmask_b32_e64 v85, v85, v31, s[74:75]                  // 000000005CAC: D1000055 012A3F55
	v_cmp_lt_i32_e64 s[72:73], v16, 10                         // 000000005CB4: D0C10048 00011510
	v_cmp_lt_i32_e64 s[74:75], v16, 11                         // 000000005CBC: D0C1004A 00011710
	v_cndmask_b32_e64 v86, v86, v31, s[72:73]                  // 000000005CC4: D1000056 01223F56
	v_cndmask_b32_e64 v87, v87, v31, s[74:75]                  // 000000005CCC: D1000057 012A3F57
	v_cmp_lt_i32_e64 s[72:73], v16, 16                         // 000000005CD4: D0C10048 00012110
	v_cmp_lt_i32_e64 s[74:75], v16, 17                         // 000000005CDC: D0C1004A 00012310
	v_cndmask_b32_e64 v88, v88, v31, s[72:73]                  // 000000005CE4: D1000058 01223F58
	v_cndmask_b32_e64 v89, v89, v31, s[74:75]                  // 000000005CEC: D1000059 012A3F59
	v_cmp_lt_i32_e64 s[72:73], v16, 18                         // 000000005CF4: D0C10048 00012510
	v_cmp_lt_i32_e64 s[74:75], v16, 19                         // 000000005CFC: D0C1004A 00012710
	v_cndmask_b32_e64 v90, v90, v31, s[72:73]                  // 000000005D04: D100005A 01223F5A
	v_cndmask_b32_e64 v91, v91, v31, s[74:75]                  // 000000005D0C: D100005B 012A3F5B
	v_cmp_lt_i32_e64 s[72:73], v16, 24                         // 000000005D14: D0C10048 00013110
	v_cmp_lt_i32_e64 s[74:75], v16, 25                         // 000000005D1C: D0C1004A 00013310
	v_cndmask_b32_e64 v92, v92, v31, s[72:73]                  // 000000005D24: D100005C 01223F5C
	v_cndmask_b32_e64 v93, v93, v31, s[74:75]                  // 000000005D2C: D100005D 012A3F5D
	v_cmp_lt_i32_e64 s[72:73], v16, 26                         // 000000005D34: D0C10048 00013510
	v_cmp_lt_i32_e64 s[74:75], v16, 27                         // 000000005D3C: D0C1004A 00013710
	v_cndmask_b32_e64 v94, v94, v31, s[72:73]                  // 000000005D44: D100005E 01223F5E
	v_cndmask_b32_e64 v95, v95, v31, s[74:75]                  // 000000005D4C: D100005F 012A3F5F
	s_cmp_lt_i32 s52, s54                                      // 000000005D54: BF043634
	s_cbranch_scc1 label_0ADA                                  // 000000005D58: BF850043
	s_sub_i32 s40, s7, s52                                     // 000000005D5C: 81A83407
	v_sub_i32 v16, s40, v30                                    // 000000005D60: D29D0010 00023C28
	v_cmp_lt_i32_e64 s[72:73], 0, v16                          // 000000005D68: D0C10048 00022080
	v_cmp_lt_i32_e64 s[74:75], 1, v16                          // 000000005D70: D0C1004A 00022081
	v_cndmask_b32_e64 v80, v31, v80, s[72:73]                  // 000000005D78: D1000050 0122A11F
	v_cndmask_b32_e64 v81, v31, v81, s[74:75]                  // 000000005D80: D1000051 012AA31F
	v_cmp_lt_i32_e64 s[72:73], 2, v16                          // 000000005D88: D0C10048 00022082
	v_cmp_lt_i32_e64 s[74:75], 3, v16                          // 000000005D90: D0C1004A 00022083
	v_cndmask_b32_e64 v82, v31, v82, s[72:73]                  // 000000005D98: D1000052 0122A51F
	v_cndmask_b32_e64 v83, v31, v83, s[74:75]                  // 000000005DA0: D1000053 012AA71F
	v_cmp_lt_i32_e64 s[72:73], 8, v16                          // 000000005DA8: D0C10048 00022088
	v_cmp_lt_i32_e64 s[74:75], 9, v16                          // 000000005DB0: D0C1004A 00022089
	v_cndmask_b32_e64 v84, v31, v84, s[72:73]                  // 000000005DB8: D1000054 0122A91F
	v_cndmask_b32_e64 v85, v31, v85, s[74:75]                  // 000000005DC0: D1000055 012AAB1F
	v_cmp_lt_i32_e64 s[72:73], 10, v16                         // 000000005DC8: D0C10048 0002208A
	v_cmp_lt_i32_e64 s[74:75], 11, v16                         // 000000005DD0: D0C1004A 0002208B
	v_cndmask_b32_e64 v86, v31, v86, s[72:73]                  // 000000005DD8: D1000056 0122AD1F
	v_cndmask_b32_e64 v87, v31, v87, s[74:75]                  // 000000005DE0: D1000057 012AAF1F
	v_cmp_lt_i32_e64 s[72:73], 16, v16                         // 000000005DE8: D0C10048 00022090
	v_cmp_lt_i32_e64 s[74:75], 17, v16                         // 000000005DF0: D0C1004A 00022091
	v_cndmask_b32_e64 v88, v31, v88, s[72:73]                  // 000000005DF8: D1000058 0122B11F
	v_cndmask_b32_e64 v89, v31, v89, s[74:75]                  // 000000005E00: D1000059 012AB31F
	v_cmp_lt_i32_e64 s[72:73], 18, v16                         // 000000005E08: D0C10048 00022092
	v_cmp_lt_i32_e64 s[74:75], 19, v16                         // 000000005E10: D0C1004A 00022093
	v_cndmask_b32_e64 v90, v31, v90, s[72:73]                  // 000000005E18: D100005A 0122B51F
	v_cndmask_b32_e64 v91, v31, v91, s[74:75]                  // 000000005E20: D100005B 012AB71F
	v_cmp_lt_i32_e64 s[72:73], 24, v16                         // 000000005E28: D0C10048 00022098
	v_cmp_lt_i32_e64 s[74:75], 25, v16                         // 000000005E30: D0C1004A 00022099
	v_cndmask_b32_e64 v92, v31, v92, s[72:73]                  // 000000005E38: D100005C 0122B91F
	v_cndmask_b32_e64 v93, v31, v93, s[74:75]                  // 000000005E40: D100005D 012ABB1F
	v_cmp_lt_i32_e64 s[72:73], 26, v16                         // 000000005E48: D0C10048 0002209A
	v_cmp_lt_i32_e64 s[74:75], 27, v16                         // 000000005E50: D0C1004A 0002209B
	v_cndmask_b32_e64 v94, v31, v94, s[72:73]                  // 000000005E58: D100005E 0122BD1F
	v_cndmask_b32_e64 v95, v31, v95, s[74:75]                  // 000000005E60: D100005F 012ABF1F

0000000000005e68 <label_0ADA>:
	s_nop 0                                                    // 000000005E68: BF800000
	s_nop 14                                                   // 000000005E6C: BF80000E
	s_mov_b32 m0, s69                                          // 000000005E70: BEFC0045
	ds_read_b64 v[192:193], v13 offset:17408                   // 000000005E74: D8EC4400 C000000D
	ds_read_b64 v[194:195], v13 offset:18432                   // 000000005E7C: D8EC4800 C200000D
	ds_read_b64 v[196:197], v13 offset:19456                   // 000000005E84: D8EC4C00 C400000D
	ds_read_b64 v[198:199], v13 offset:20480                   // 000000005E8C: D8EC5000 C600000D
	ds_read_b64 v[200:201], v13 offset:17536                   // 000000005E94: D8EC4480 C800000D
	ds_read_b64 v[202:203], v13 offset:18560                   // 000000005E9C: D8EC4880 CA00000D
	ds_read_b64 v[204:205], v13 offset:19584                   // 000000005EA4: D8EC4C80 CC00000D
	ds_read_b64 v[206:207], v13 offset:20608                   // 000000005EAC: D8EC5080 CE00000D
	s_nop 15                                                   // 000000005EB4: BF80000F
	s_nop 15                                                   // 000000005EB8: BF80000F
	buffer_load_dword v4, s[12:15], s60 offen lds              // 000000005EBC: E0511000 3C030004
	s_add_u32 m0, 0x880, m0                                    // 000000005EC4: 807C7CFF 00000880
	ds_read_b64 v[208:209], v13 offset:17664                   // 000000005ECC: D8EC4500 D000000D
	ds_read_b64 v[210:211], v13 offset:18688                   // 000000005ED4: D8EC4900 D200000D
	ds_read_b64 v[212:213], v13 offset:19712                   // 000000005EDC: D8EC4D00 D400000D
	ds_read_b64 v[214:215], v13 offset:20736                   // 000000005EE4: D8EC5100 D600000D
	buffer_load_dword v5, s[12:15], s60 offen lds              // 000000005EEC: E0511000 3C030005
	s_add_u32 m0, 0x880, m0                                    // 000000005EF4: 807C7CFF 00000880
	ds_read_b64 v[216:217], v13 offset:17792                   // 000000005EFC: D8EC4580 D800000D
	ds_read_b64 v[218:219], v13 offset:18816                   // 000000005F04: D8EC4980 DA00000D
	ds_read_b64 v[220:221], v13 offset:19840                   // 000000005F0C: D8EC4D80 DC00000D
	ds_read_b64 v[222:223], v13 offset:20864                   // 000000005F14: D8EC5180 DE00000D
	buffer_load_dword v6, s[12:15], s60 offen lds              // 000000005F1C: E0511000 3C030006
	s_add_u32 m0, 0x880, m0                                    // 000000005F24: 807C7CFF 00000880
	buffer_load_dword v7, s[12:15], s60 offen lds              // 000000005F2C: E0511000 3C030007
	s_add_u32 m0, 0x880, m0                                    // 000000005F34: 807C7CFF 00000880
	s_add_i32 s60, s43, s60                                    // 000000005F3C: 813C3C2B
	s_add_u32 s40, 0x80, s39                                   // 000000005F40: 802827FF 00000080
	s_cmp_lt_u32 s40, s38                                      // 000000005F48: BF0A2628
	s_cselect_b32 s43, s43, 0                                  // 000000005F4C: 852B802B
	s_add_i32 s52, s52, s53                                    // 000000005F50: 81343534
	s_addk_i32 s39, 0x20                                       // 000000005F54: B7270020
	s_cmp_lt_i32 s39, s38                                      // 000000005F58: BF042627
	s_waitcnt vmcnt(8) lgkmcnt(0)                              // 000000005F5C: BF8C0078
	s_barrier                                                  // 000000005F60: BF8A0000
	v_mfma_f32_32x32x8_bf16 v[96:111], v[192:193], v[64:65], v[96:111]// 000000005F64: D3E00060 058281C0
	v_max3_f32 v25, v80, v81, v28                              // 000000005F6C: D1D30019 0472A350
	v_max3_f32 v25, v82, v83, v25                              // 000000005F74: D1D30019 0466A752
	v_max3_f32 v25, v84, v85, v25                              // 000000005F7C: D1D30019 0466AB54
	v_max3_f32 v25, v86, v87, v25                              // 000000005F84: D1D30019 0466AF56
	v_max3_f32 v25, v88, v89, v25                              // 000000005F8C: D1D30019 0466B358
	v_max3_f32 v25, v90, v91, v25                              // 000000005F94: D1D30019 0466B75A
	v_max3_f32 v25, v92, v93, v25                              // 000000005F9C: D1D30019 0466BB5C
	v_mfma_f32_32x32x8_bf16 v[96:111], v[194:195], v[66:67], v[96:111]// 000000005FA4: D3E00060 058285C2
	v_max3_f32 v25, v94, v95, v25                              // 000000005FAC: D1D30019 0466BF5E
	ds_permute_b32 v24, v32, v25                               // 000000005FB4: D87C0000 18001920
	v_mfma_f32_32x32x8_bf16 v[96:111], v[196:197], v[68:69], v[96:111]// 000000005FBC: D3E00060 058289C4
	v_nop                                                      // 000000005FC4: 7E000000
	s_nop 0                                                    // 000000005FC8: BF800000
	v_mfma_f32_32x32x8_bf16 v[96:111], v[198:199], v[70:71], v[96:111]// 000000005FCC: D3E00060 05828DC6
	v_nop                                                      // 000000005FD4: 7E000000
	v_mfma_f32_32x32x8_bf16 v[112:127], v[200:201], v[64:65], v[112:127]// 000000005FD8: D3E00070 05C281C8
	s_waitcnt lgkmcnt(0)                                       // 000000005FE0: BF8CC07F
	v_max_f32_e32 v25, v24, v25                                // 000000005FE4: 16323318
	v_sub_f32_e32 v20, v28, v25                                // 000000005FE8: 0428331C
	v_mov_b32_e32 v28, v25                                     // 000000005FEC: 7E380319
	v_mul_f32_e32 v27, s56, v25                                // 000000005FF0: 0A363238
	v_mul_f32_e32 v20, s56, v20                                // 000000005FF4: 0A282838
	v_mfma_f32_32x32x8_bf16 v[112:127], v[202:203], v[66:67], v[112:127]// 000000005FF8: D3E00070 05C285CA
	v_exp_f32_e32 v20, v20                                     // 000000006000: 7E284114
	v_fma_f32 v80, v80, s56, -v27                              // 000000006004: D1CB0050 846C7150
	v_fma_f32 v81, v81, s56, -v27                              // 00000000600C: D1CB0051 846C7151
	v_fma_f32 v82, v82, s56, -v27                              // 000000006014: D1CB0052 846C7152
	v_mfma_f32_32x32x8_bf16 v[112:127], v[204:205], v[68:69], v[112:127]// 00000000601C: D3E00070 05C289CC
	v_fma_f32 v83, v83, s56, -v27                              // 000000006024: D1CB0053 846C7153
	v_fma_f32 v84, v84, s56, -v27                              // 00000000602C: D1CB0054 846C7154
	v_fma_f32 v85, v85, s56, -v27                              // 000000006034: D1CB0055 846C7155
	v_fma_f32 v86, v86, s56, -v27                              // 00000000603C: D1CB0056 846C7156
	v_fma_f32 v87, v87, s56, -v27                              // 000000006044: D1CB0057 846C7157
	v_fma_f32 v88, v88, s56, -v27                              // 00000000604C: D1CB0058 846C7158
	v_fma_f32 v89, v89, s56, -v27                              // 000000006054: D1CB0059 846C7159
	v_mfma_f32_32x32x8_bf16 v[112:127], v[206:207], v[70:71], v[112:127]// 00000000605C: D3E00070 05C28DCE
	v_fma_f32 v90, v90, s56, -v27                              // 000000006064: D1CB005A 846C715A
	v_fma_f32 v91, v91, s56, -v27                              // 00000000606C: D1CB005B 846C715B
	v_fma_f32 v92, v92, s56, -v27                              // 000000006074: D1CB005C 846C715C
	v_fma_f32 v93, v93, s56, -v27                              // 00000000607C: D1CB005D 846C715D
	v_fma_f32 v94, v94, s56, -v27                              // 000000006084: D1CB005E 846C715E
	v_fma_f32 v95, v95, s56, -v27                              // 00000000608C: D1CB005F 846C715F
	v_exp_f32_e32 v80, v80                                     // 000000006094: 7EA04150
	v_mfma_f32_32x32x8_bf16 v[128:143], v[208:209], v[64:65], v[128:143]// 000000006098: D3E00080 060281D0
	v_exp_f32_e32 v81, v81                                     // 0000000060A0: 7EA24151
	v_exp_f32_e32 v82, v82                                     // 0000000060A4: 7EA44152
	v_mfma_f32_32x32x8_bf16 v[128:143], v[210:211], v[66:67], v[128:143]// 0000000060A8: D3E00080 060285D2
	v_exp_f32_e32 v83, v83                                     // 0000000060B0: 7EA64153
	v_exp_f32_e32 v84, v84                                     // 0000000060B4: 7EA84154
	v_mfma_f32_32x32x8_bf16 v[128:143], v[212:213], v[68:69], v[128:143]// 0000000060B8: D3E00080 060289D4
	v_exp_f32_e32 v85, v85                                     // 0000000060C0: 7EAA4155
	v_exp_f32_e32 v86, v86                                     // 0000000060C4: 7EAC4156
	v_mfma_f32_32x32x8_bf16 v[128:143], v[214:215], v[70:71], v[128:143]// 0000000060C8: D3E00080 06028DD6
	v_exp_f32_e32 v87, v87                                     // 0000000060D0: 7EAE4157
	v_exp_f32_e32 v88, v88                                     // 0000000060D4: 7EB04158
	v_mfma_f32_32x32x8_bf16 v[144:159], v[216:217], v[64:65], v[144:159]// 0000000060D8: D3E00090 064281D8
	v_exp_f32_e32 v89, v89                                     // 0000000060E0: 7EB24159
	v_exp_f32_e32 v90, v90                                     // 0000000060E4: 7EB4415A
	v_mfma_f32_32x32x8_bf16 v[144:159], v[218:219], v[66:67], v[144:159]// 0000000060E8: D3E00090 064285DA
	v_exp_f32_e32 v91, v91                                     // 0000000060F0: 7EB6415B
	v_exp_f32_e32 v92, v92                                     // 0000000060F4: 7EB8415C
	v_mfma_f32_32x32x8_bf16 v[144:159], v[220:221], v[68:69], v[144:159]// 0000000060F8: D3E00090 064289DC
	v_exp_f32_e32 v93, v93                                     // 000000006100: 7EBA415D
	v_exp_f32_e32 v94, v94                                     // 000000006104: 7EBC415E
	v_mfma_f32_32x32x8_bf16 v[144:159], v[222:223], v[70:71], v[144:159]// 000000006108: D3E00090 06428DDE
	v_nop                                                      // 000000006110: 7E000000
	s_cbranch_scc0 label_0DFA                                  // 000000006114: BF840274
	buffer_load_dword v224, v8, s[16:19], s35 offen            // 000000006118: E0501000 2304E008
	ds_read_b128 v[192:195], v12                               // 000000006120: D9FE0000 C000000C
	ds_read_b128 v[196:199], v12 offset:32                     // 000000006128: D9FE0020 C400000C
	buffer_load_dword v225, v9, s[16:19], s35 offen            // 000000006130: E0501000 2304E109
	ds_read_b128 v[200:203], v12 offset:64                     // 000000006138: D9FE0040 C800000C
	ds_read_b128 v[204:207], v12 offset:96                     // 000000006140: D9FE0060 CC00000C
	buffer_load_dword v226, v10, s[16:19], s35 offen           // 000000006148: E0501000 2304E20A
	ds_read_b128 v[208:211], v12 offset:128                    // 000000006150: D9FE0080 D000000C
	ds_read_b128 v[212:215], v12 offset:160                    // 000000006158: D9FE00A0 D400000C
	buffer_load_dword v227, v11, s[16:19], s35 offen           // 000000006160: E0501000 2304E30B
	ds_read_b128 v[216:219], v12 offset:192                    // 000000006168: D9FE00C0 D800000C
	ds_read_b128 v[220:223], v12 offset:224                    // 000000006170: D9FE00E0 DC00000C
	s_add_i32 s35, s44, s35                                    // 000000006178: 8123232C
	s_add_u32 s40, 64, s39                                     // 00000000617C: 802827C0
	s_nop 0                                                    // 000000006180: BF800000
	s_cmp_lt_u32 s40, s38                                      // 000000006184: BF0A2628
	s_cselect_b32 s44, s44, 0                                  // 000000006188: 852C802C
	s_waitcnt vmcnt(8) lgkmcnt(0)                              // 00000000618C: BF8C0078
	s_barrier                                                  // 000000006190: BF8A0000
	v_perm_b32 v232, v229, v228, s50                           // 000000006194: D1ED00E8 00CBC9E5
	v_perm_b32 v234, v229, v228, s49                           // 00000000619C: D1ED00EA 00C7C9E5
	v_perm_b32 v233, v231, v230, s50                           // 0000000061A4: D1ED00E9 00CBCDE7
	v_perm_b32 v235, v231, v230, s49                           // 0000000061AC: D1ED00EB 00C7CDE7
	ds_write_b64 v14, v[232:233] offset:17408                  // 0000000061B4: D89A4400 0000E80E
	ds_write_b64 v14, v[234:235] offset:21568                  // 0000000061BC: D89A5440 0000EA0E
	s_nop 0                                                    // 0000000061C4: BF800000
	s_barrier                                                  // 0000000061C8: BF8A0000
	v_mfma_f32_32x32x8_bf16 v[64:79], v[192:193], v[160:161], 0// 0000000061CC: D3E00040 020341C0
	v_exp_f32_e32 v95, v95                                     // 0000000061D4: 7EBE415F
	v_mul_f32_e32 v22, v20, v22                                // 0000000061D8: 0A2C2D14
	v_add_f32_e32 v38, v81, v80                                // 0000000061DC: 024CA151
	v_add_f32_e32 v38, v82, v38                                // 0000000061E0: 024C4D52
	v_mfma_f32_32x32x8_bf16 v[64:79], v[194:195], v[162:163], v[64:79]// 0000000061E4: D3E00040 050345C2
	v_add_f32_e32 v38, v83, v38                                // 0000000061EC: 024C4D53
	v_add_f32_e32 v38, v84, v38                                // 0000000061F0: 024C4D54
	v_add_f32_e32 v38, v85, v38                                // 0000000061F4: 024C4D55
	v_add_f32_e32 v38, v86, v38                                // 0000000061F8: 024C4D56
	v_add_f32_e32 v38, v87, v38                                // 0000000061FC: 024C4D57
	v_add_f32_e32 v38, v88, v38                                // 000000006200: 024C4D58
	v_add_f32_e32 v38, v89, v38                                // 000000006204: 024C4D59
	v_mfma_f32_32x32x8_bf16 v[64:79], v[196:197], v[164:165], v[64:79]// 000000006208: D3E00040 050349C4
	v_add_f32_e32 v38, v90, v38                                // 000000006210: 024C4D5A
	v_add_f32_e32 v38, v91, v38                                // 000000006214: 024C4D5B
	v_add_f32_e32 v38, v92, v38                                // 000000006218: 024C4D5C
	v_add_f32_e32 v38, v93, v38                                // 00000000621C: 024C4D5D
	v_add_f32_e32 v38, v94, v38                                // 000000006220: 024C4D5E
	v_add_f32_e32 v38, v95, v38                                // 000000006224: 024C4D5F
	v_add_f32_e32 v22, v38, v22                                // 000000006228: 022C2D26
	v_mfma_f32_32x32x8_bf16 v[64:79], v[198:199], v[166:167], v[64:79]// 00000000622C: D3E00040 05034DC6
	s_waitcnt lgkmcnt(0)                                       // 000000006234: BF8CC07F
	s_barrier                                                  // 000000006238: BF8A0000
	v_mfma_f32_32x32x8_bf16 v[64:79], v[200:201], v[168:169], v[64:79]// 00000000623C: D3E00040 050351C8
	v_mul_f32_e32 v96, v20, v96                                // 000000006244: 0AC0C114
	v_mul_f32_e32 v97, v20, v97                                // 000000006248: 0AC2C314
	v_mul_f32_e32 v98, v20, v98                                // 00000000624C: 0AC4C514
	v_mul_f32_e32 v99, v20, v99                                // 000000006250: 0AC6C714
	v_mul_f32_e32 v100, v20, v100                              // 000000006254: 0AC8C914
	v_mul_f32_e32 v101, v20, v101                              // 000000006258: 0ACACB14
	v_mul_f32_e32 v102, v20, v102                              // 00000000625C: 0ACCCD14
	v_mfma_f32_32x32x8_bf16 v[64:79], v[202:203], v[170:171], v[64:79]// 000000006260: D3E00040 050355CA
	v_mul_f32_e32 v103, v20, v103                              // 000000006268: 0ACECF14
	v_mul_f32_e32 v104, v20, v104                              // 00000000626C: 0AD0D114
	v_mul_f32_e32 v105, v20, v105                              // 000000006270: 0AD2D314
	v_mul_f32_e32 v106, v20, v106                              // 000000006274: 0AD4D514
	v_mul_f32_e32 v107, v20, v107                              // 000000006278: 0AD6D714
	v_mul_f32_e32 v108, v20, v108                              // 00000000627C: 0AD8D914
	v_mul_f32_e32 v109, v20, v109                              // 000000006280: 0ADADB14
	v_mfma_f32_32x32x8_bf16 v[64:79], v[204:205], v[172:173], v[64:79]// 000000006284: D3E00040 050359CC
	v_mul_f32_e32 v110, v20, v110                              // 00000000628C: 0ADCDD14
	v_mul_f32_e32 v111, v20, v111                              // 000000006290: 0ADEDF14
	v_mul_f32_e32 v112, v20, v112                              // 000000006294: 0AE0E114
	v_mul_f32_e32 v113, v20, v113                              // 000000006298: 0AE2E314
	v_mul_f32_e32 v114, v20, v114                              // 00000000629C: 0AE4E514
	v_mul_f32_e32 v115, v20, v115                              // 0000000062A0: 0AE6E714
	v_mul_f32_e32 v116, v20, v116                              // 0000000062A4: 0AE8E914
	v_mfma_f32_32x32x8_bf16 v[64:79], v[206:207], v[174:175], v[64:79]// 0000000062A8: D3E00040 05035DCE
	v_mul_f32_e32 v117, v20, v117                              // 0000000062B0: 0AEAEB14
	v_mul_f32_e32 v118, v20, v118                              // 0000000062B4: 0AECED14
	v_mul_f32_e32 v119, v20, v119                              // 0000000062B8: 0AEEEF14
	v_mul_f32_e32 v120, v20, v120                              // 0000000062BC: 0AF0F114
	v_mul_f32_e32 v121, v20, v121                              // 0000000062C0: 0AF2F314
	v_mul_f32_e32 v122, v20, v122                              // 0000000062C4: 0AF4F514
	v_mul_f32_e32 v123, v20, v123                              // 0000000062C8: 0AF6F714
	v_mfma_f32_32x32x8_bf16 v[64:79], v[208:209], v[176:177], v[64:79]// 0000000062CC: D3E00040 050361D0
	v_mul_f32_e32 v124, v20, v124                              // 0000000062D4: 0AF8F914
	v_mul_f32_e32 v125, v20, v125                              // 0000000062D8: 0AFAFB14
	v_mul_f32_e32 v126, v20, v126                              // 0000000062DC: 0AFCFD14
	v_mul_f32_e32 v127, v20, v127                              // 0000000062E0: 0AFEFF14
	v_mul_f32_e32 v128, v20, v128                              // 0000000062E4: 0B010114
	v_mul_f32_e32 v129, v20, v129                              // 0000000062E8: 0B030314
	v_mul_f32_e32 v130, v20, v130                              // 0000000062EC: 0B050514
	v_mfma_f32_32x32x8_bf16 v[64:79], v[210:211], v[178:179], v[64:79]// 0000000062F0: D3E00040 050365D2
	v_mul_f32_e32 v131, v20, v131                              // 0000000062F8: 0B070714
	v_mul_f32_e32 v132, v20, v132                              // 0000000062FC: 0B090914
	v_mul_f32_e32 v133, v20, v133                              // 000000006300: 0B0B0B14
	v_mul_f32_e32 v134, v20, v134                              // 000000006304: 0B0D0D14
	v_mul_f32_e32 v135, v20, v135                              // 000000006308: 0B0F0F14
	v_mul_f32_e32 v136, v20, v136                              // 00000000630C: 0B111114
	v_mul_f32_e32 v137, v20, v137                              // 000000006310: 0B131314
	v_mfma_f32_32x32x8_bf16 v[64:79], v[212:213], v[180:181], v[64:79]// 000000006314: D3E00040 050369D4
	v_mul_f32_e32 v138, v20, v138                              // 00000000631C: 0B151514
	v_mul_f32_e32 v139, v20, v139                              // 000000006320: 0B171714
	v_mul_f32_e32 v140, v20, v140                              // 000000006324: 0B191914
	v_mul_f32_e32 v141, v20, v141                              // 000000006328: 0B1B1B14
	v_mul_f32_e32 v142, v20, v142                              // 00000000632C: 0B1D1D14
	v_mul_f32_e32 v143, v20, v143                              // 000000006330: 0B1F1F14
	v_mul_f32_e32 v144, v20, v144                              // 000000006334: 0B212114
	v_mfma_f32_32x32x8_bf16 v[64:79], v[214:215], v[182:183], v[64:79]// 000000006338: D3E00040 05036DD6
	v_mul_f32_e32 v145, v20, v145                              // 000000006340: 0B232314
	v_mul_f32_e32 v146, v20, v146                              // 000000006344: 0B252514
	v_mul_f32_e32 v147, v20, v147                              // 000000006348: 0B272714
	v_mul_f32_e32 v148, v20, v148                              // 00000000634C: 0B292914
	v_mul_f32_e32 v149, v20, v149                              // 000000006350: 0B2B2B14
	v_mul_f32_e32 v150, v20, v150                              // 000000006354: 0B2D2D14
	v_mul_f32_e32 v151, v20, v151                              // 000000006358: 0B2F2F14
	v_mfma_f32_32x32x8_bf16 v[64:79], v[216:217], v[184:185], v[64:79]// 00000000635C: D3E00040 050371D8
	v_mul_f32_e32 v152, v20, v152                              // 000000006364: 0B313114
	v_mul_f32_e32 v153, v20, v153                              // 000000006368: 0B333314
	v_mul_f32_e32 v154, v20, v154                              // 00000000636C: 0B353514
	v_mul_f32_e32 v155, v20, v155                              // 000000006370: 0B373714
	v_mul_f32_e32 v156, v20, v156                              // 000000006374: 0B393914
	v_mul_f32_e32 v157, v20, v157                              // 000000006378: 0B3B3B14
	v_mul_f32_e32 v158, v20, v158                              // 00000000637C: 0B3D3D14
	v_mfma_f32_32x32x8_bf16 v[64:79], v[218:219], v[186:187], v[64:79]// 000000006380: D3E00040 050375DA
	v_mul_f32_e32 v159, v20, v159                              // 000000006388: 0B3F3F14
	v_cmp_u_f32_e64 s[70:71], v80, v80                         // 00000000638C: D0480046 0002A150
	v_bfe_u32 v40, v80, 16, 1                                  // 000000006394: D1C80028 02052150
	v_add3_u32 v40, v80, v40, v43                              // 00000000639C: D1FF0028 04AE5150
	v_cndmask_b32_e64 v16, v40, v42, s[70:71]                  // 0000000063A4: D1000010 011A5528
	v_lshrrev_b32_e32 v16, 16, v16                             // 0000000063AC: 20202090
	v_cmp_u_f32_e64 s[70:71], v81, v81                         // 0000000063B0: D0480046 0002A351
	v_bfe_u32 v40, v81, 16, 1                                  // 0000000063B8: D1C80028 02052151
	v_add3_u32 v40, v81, v40, v43                              // 0000000063C0: D1FF0028 04AE5151
	v_cndmask_b32_e64 v17, v40, v42, s[70:71]                  // 0000000063C8: D1000011 011A5528
	v_and_or_b32 v80, v17, v41, v16                            // 0000000063D0: D2010050 04425311
	v_cmp_u_f32_e64 s[70:71], v82, v82                         // 0000000063D8: D0480046 0002A552
	v_bfe_u32 v40, v82, 16, 1                                  // 0000000063E0: D1C80028 02052152
	v_add3_u32 v40, v82, v40, v43                              // 0000000063E8: D1FF0028 04AE5152
	v_cndmask_b32_e64 v16, v40, v42, s[70:71]                  // 0000000063F0: D1000010 011A5528
	v_lshrrev_b32_e32 v16, 16, v16                             // 0000000063F8: 20202090
	v_cmp_u_f32_e64 s[70:71], v83, v83                         // 0000000063FC: D0480046 0002A753
	v_bfe_u32 v40, v83, 16, 1                                  // 000000006404: D1C80028 02052153
	v_add3_u32 v40, v83, v40, v43                              // 00000000640C: D1FF0028 04AE5153
	v_cndmask_b32_e64 v17, v40, v42, s[70:71]                  // 000000006414: D1000011 011A5528
	v_and_or_b32 v81, v17, v41, v16                            // 00000000641C: D2010051 04425311
	v_cmp_u_f32_e64 s[70:71], v84, v84                         // 000000006424: D0480046 0002A954
	v_bfe_u32 v40, v84, 16, 1                                  // 00000000642C: D1C80028 02052154
	v_add3_u32 v40, v84, v40, v43                              // 000000006434: D1FF0028 04AE5154
	v_cndmask_b32_e64 v16, v40, v42, s[70:71]                  // 00000000643C: D1000010 011A5528
	v_lshrrev_b32_e32 v16, 16, v16                             // 000000006444: 20202090
	v_cmp_u_f32_e64 s[70:71], v85, v85                         // 000000006448: D0480046 0002AB55
	v_bfe_u32 v40, v85, 16, 1                                  // 000000006450: D1C80028 02052155
	v_add3_u32 v40, v85, v40, v43                              // 000000006458: D1FF0028 04AE5155
	v_cndmask_b32_e64 v17, v40, v42, s[70:71]                  // 000000006460: D1000011 011A5528
	v_and_or_b32 v82, v17, v41, v16                            // 000000006468: D2010052 04425311
	v_cmp_u_f32_e64 s[70:71], v86, v86                         // 000000006470: D0480046 0002AD56
	v_bfe_u32 v40, v86, 16, 1                                  // 000000006478: D1C80028 02052156
	v_add3_u32 v40, v86, v40, v43                              // 000000006480: D1FF0028 04AE5156
	v_cndmask_b32_e64 v16, v40, v42, s[70:71]                  // 000000006488: D1000010 011A5528
	v_lshrrev_b32_e32 v16, 16, v16                             // 000000006490: 20202090
	v_cmp_u_f32_e64 s[70:71], v87, v87                         // 000000006494: D0480046 0002AF57
	v_bfe_u32 v40, v87, 16, 1                                  // 00000000649C: D1C80028 02052157
	v_add3_u32 v40, v87, v40, v43                              // 0000000064A4: D1FF0028 04AE5157
	v_cndmask_b32_e64 v17, v40, v42, s[70:71]                  // 0000000064AC: D1000011 011A5528
	v_and_or_b32 v83, v17, v41, v16                            // 0000000064B4: D2010053 04425311
	v_cmp_u_f32_e64 s[70:71], v88, v88                         // 0000000064BC: D0480046 0002B158
	v_bfe_u32 v40, v88, 16, 1                                  // 0000000064C4: D1C80028 02052158
	v_add3_u32 v40, v88, v40, v43                              // 0000000064CC: D1FF0028 04AE5158
	v_cndmask_b32_e64 v16, v40, v42, s[70:71]                  // 0000000064D4: D1000010 011A5528
	v_lshrrev_b32_e32 v16, 16, v16                             // 0000000064DC: 20202090
	v_cmp_u_f32_e64 s[70:71], v89, v89                         // 0000000064E0: D0480046 0002B359
	v_bfe_u32 v40, v89, 16, 1                                  // 0000000064E8: D1C80028 02052159
	v_add3_u32 v40, v89, v40, v43                              // 0000000064F0: D1FF0028 04AE5159
	v_cndmask_b32_e64 v17, v40, v42, s[70:71]                  // 0000000064F8: D1000011 011A5528
	v_and_or_b32 v84, v17, v41, v16                            // 000000006500: D2010054 04425311
	v_cmp_u_f32_e64 s[70:71], v90, v90                         // 000000006508: D0480046 0002B55A
	v_bfe_u32 v40, v90, 16, 1                                  // 000000006510: D1C80028 0205215A
	v_add3_u32 v40, v90, v40, v43                              // 000000006518: D1FF0028 04AE515A
	v_cndmask_b32_e64 v16, v40, v42, s[70:71]                  // 000000006520: D1000010 011A5528
	v_lshrrev_b32_e32 v16, 16, v16                             // 000000006528: 20202090
	v_cmp_u_f32_e64 s[70:71], v91, v91                         // 00000000652C: D0480046 0002B75B
	v_bfe_u32 v40, v91, 16, 1                                  // 000000006534: D1C80028 0205215B
	v_add3_u32 v40, v91, v40, v43                              // 00000000653C: D1FF0028 04AE515B
	v_cndmask_b32_e64 v17, v40, v42, s[70:71]                  // 000000006544: D1000011 011A5528
	v_and_or_b32 v85, v17, v41, v16                            // 00000000654C: D2010055 04425311
	v_mfma_f32_32x32x8_bf16 v[64:79], v[220:221], v[188:189], v[64:79]// 000000006554: D3E00040 050379DC
	v_cmp_u_f32_e64 s[70:71], v92, v92                         // 00000000655C: D0480046 0002B95C
	v_bfe_u32 v40, v92, 16, 1                                  // 000000006564: D1C80028 0205215C
	v_add3_u32 v40, v92, v40, v43                              // 00000000656C: D1FF0028 04AE515C
	v_cndmask_b32_e64 v16, v40, v42, s[70:71]                  // 000000006574: D1000010 011A5528
	v_lshrrev_b32_e32 v16, 16, v16                             // 00000000657C: 20202090
	v_cmp_u_f32_e64 s[70:71], v93, v93                         // 000000006580: D0480046 0002BB5D
	v_bfe_u32 v40, v93, 16, 1                                  // 000000006588: D1C80028 0205215D
	v_add3_u32 v40, v93, v40, v43                              // 000000006590: D1FF0028 04AE515D
	v_cndmask_b32_e64 v17, v40, v42, s[70:71]                  // 000000006598: D1000011 011A5528
	v_and_or_b32 v86, v17, v41, v16                            // 0000000065A0: D2010056 04425311
	v_cmp_u_f32_e64 s[70:71], v94, v94                         // 0000000065A8: D0480046 0002BD5E
	v_bfe_u32 v40, v94, 16, 1                                  // 0000000065B0: D1C80028 0205215E
	v_add3_u32 v40, v94, v40, v43                              // 0000000065B8: D1FF0028 04AE515E
	v_cndmask_b32_e64 v16, v40, v42, s[70:71]                  // 0000000065C0: D1000010 011A5528
	v_lshrrev_b32_e32 v16, 16, v16                             // 0000000065C8: 20202090
	v_cmp_u_f32_e64 s[70:71], v95, v95                         // 0000000065CC: D0480046 0002BF5F
	v_bfe_u32 v40, v95, 16, 1                                  // 0000000065D4: D1C80028 0205215F
	v_add3_u32 v40, v95, v40, v43                              // 0000000065DC: D1FF0028 04AE515F
	v_cndmask_b32_e64 v17, v40, v42, s[70:71]                  // 0000000065E4: D1000011 011A5528
	v_and_or_b32 v87, v17, v41, v16                            // 0000000065EC: D2010057 04425311
	v_mfma_f32_32x32x8_bf16 v[64:79], v[222:223], v[190:191], v[64:79]// 0000000065F4: D3E00040 05037DDE
	s_barrier                                                  // 0000000065FC: BF8A0000
	s_cmp_lt_i32 s52, s51                                      // 000000006600: BF043334
	s_cbranch_scc1 label_0D4D                                  // 000000006604: BF85008B
	s_sub_i32 s40, s51, s52                                    // 000000006608: 81A83433
	s_sub_i32 s41, s7, s30                                     // 00000000660C: 81A91E07
	s_and_b32 s41, s41, 31                                     // 000000006610: 86299F29
	s_add_i32 s40, s40, s41                                    // 000000006614: 81282928
	v_add_i32 v16, v29, s40                                    // 000000006618: D29C0010 0000511D
	v_cmp_lt_i32_e64 s[72:73], v16, 0                          // 000000006620: D0C10048 00010110
	v_cmp_lt_i32_e64 s[74:75], v16, 1                          // 000000006628: D0C1004A 00010310
	v_cndmask_b32_e64 v64, v64, v31, s[72:73]                  // 000000006630: D1000040 01223F40
	v_cndmask_b32_e64 v65, v65, v31, s[74:75]                  // 000000006638: D1000041 012A3F41
	v_cmp_lt_i32_e64 s[72:73], v16, 2                          // 000000006640: D0C10048 00010510
	v_cmp_lt_i32_e64 s[74:75], v16, 3                          // 000000006648: D0C1004A 00010710
	v_cndmask_b32_e64 v66, v66, v31, s[72:73]                  // 000000006650: D1000042 01223F42
	v_cndmask_b32_e64 v67, v67, v31, s[74:75]                  // 000000006658: D1000043 012A3F43
	v_cmp_lt_i32_e64 s[72:73], v16, 8                          // 000000006660: D0C10048 00011110
	v_cmp_lt_i32_e64 s[74:75], v16, 9                          // 000000006668: D0C1004A 00011310
	v_cndmask_b32_e64 v68, v68, v31, s[72:73]                  // 000000006670: D1000044 01223F44
	v_cndmask_b32_e64 v69, v69, v31, s[74:75]                  // 000000006678: D1000045 012A3F45
	v_cmp_lt_i32_e64 s[72:73], v16, 10                         // 000000006680: D0C10048 00011510
	v_cmp_lt_i32_e64 s[74:75], v16, 11                         // 000000006688: D0C1004A 00011710
	v_cndmask_b32_e64 v70, v70, v31, s[72:73]                  // 000000006690: D1000046 01223F46
	v_cndmask_b32_e64 v71, v71, v31, s[74:75]                  // 000000006698: D1000047 012A3F47
	v_cmp_lt_i32_e64 s[72:73], v16, 16                         // 0000000066A0: D0C10048 00012110
	v_cmp_lt_i32_e64 s[74:75], v16, 17                         // 0000000066A8: D0C1004A 00012310
	v_cndmask_b32_e64 v72, v72, v31, s[72:73]                  // 0000000066B0: D1000048 01223F48
	v_cndmask_b32_e64 v73, v73, v31, s[74:75]                  // 0000000066B8: D1000049 012A3F49
	v_cmp_lt_i32_e64 s[72:73], v16, 18                         // 0000000066C0: D0C10048 00012510
	v_cmp_lt_i32_e64 s[74:75], v16, 19                         // 0000000066C8: D0C1004A 00012710
	v_cndmask_b32_e64 v74, v74, v31, s[72:73]                  // 0000000066D0: D100004A 01223F4A
	v_cndmask_b32_e64 v75, v75, v31, s[74:75]                  // 0000000066D8: D100004B 012A3F4B
	v_cmp_lt_i32_e64 s[72:73], v16, 24                         // 0000000066E0: D0C10048 00013110
	v_cmp_lt_i32_e64 s[74:75], v16, 25                         // 0000000066E8: D0C1004A 00013310
	v_cndmask_b32_e64 v76, v76, v31, s[72:73]                  // 0000000066F0: D100004C 01223F4C
	v_cndmask_b32_e64 v77, v77, v31, s[74:75]                  // 0000000066F8: D100004D 012A3F4D
	v_cmp_lt_i32_e64 s[72:73], v16, 26                         // 000000006700: D0C10048 00013510
	v_cmp_lt_i32_e64 s[74:75], v16, 27                         // 000000006708: D0C1004A 00013710
	v_cndmask_b32_e64 v78, v78, v31, s[72:73]                  // 000000006710: D100004E 01223F4E
	v_cndmask_b32_e64 v79, v79, v31, s[74:75]                  // 000000006718: D100004F 012A3F4F
	s_cmp_lt_i32 s52, s54                                      // 000000006720: BF043634
	s_cbranch_scc1 label_0D4D                                  // 000000006724: BF850043
	s_sub_i32 s40, s7, s52                                     // 000000006728: 81A83407
	v_sub_i32 v16, s40, v30                                    // 00000000672C: D29D0010 00023C28
	v_cmp_lt_i32_e64 s[72:73], 0, v16                          // 000000006734: D0C10048 00022080
	v_cmp_lt_i32_e64 s[74:75], 1, v16                          // 00000000673C: D0C1004A 00022081
	v_cndmask_b32_e64 v64, v31, v64, s[72:73]                  // 000000006744: D1000040 0122811F
	v_cndmask_b32_e64 v65, v31, v65, s[74:75]                  // 00000000674C: D1000041 012A831F
	v_cmp_lt_i32_e64 s[72:73], 2, v16                          // 000000006754: D0C10048 00022082
	v_cmp_lt_i32_e64 s[74:75], 3, v16                          // 00000000675C: D0C1004A 00022083
	v_cndmask_b32_e64 v66, v31, v66, s[72:73]                  // 000000006764: D1000042 0122851F
	v_cndmask_b32_e64 v67, v31, v67, s[74:75]                  // 00000000676C: D1000043 012A871F
	v_cmp_lt_i32_e64 s[72:73], 8, v16                          // 000000006774: D0C10048 00022088
	v_cmp_lt_i32_e64 s[74:75], 9, v16                          // 00000000677C: D0C1004A 00022089
	v_cndmask_b32_e64 v68, v31, v68, s[72:73]                  // 000000006784: D1000044 0122891F
	v_cndmask_b32_e64 v69, v31, v69, s[74:75]                  // 00000000678C: D1000045 012A8B1F
	v_cmp_lt_i32_e64 s[72:73], 10, v16                         // 000000006794: D0C10048 0002208A
	v_cmp_lt_i32_e64 s[74:75], 11, v16                         // 00000000679C: D0C1004A 0002208B
	v_cndmask_b32_e64 v70, v31, v70, s[72:73]                  // 0000000067A4: D1000046 01228D1F
	v_cndmask_b32_e64 v71, v31, v71, s[74:75]                  // 0000000067AC: D1000047 012A8F1F
	v_cmp_lt_i32_e64 s[72:73], 16, v16                         // 0000000067B4: D0C10048 00022090
	v_cmp_lt_i32_e64 s[74:75], 17, v16                         // 0000000067BC: D0C1004A 00022091
	v_cndmask_b32_e64 v72, v31, v72, s[72:73]                  // 0000000067C4: D1000048 0122911F
	v_cndmask_b32_e64 v73, v31, v73, s[74:75]                  // 0000000067CC: D1000049 012A931F
	v_cmp_lt_i32_e64 s[72:73], 18, v16                         // 0000000067D4: D0C10048 00022092
	v_cmp_lt_i32_e64 s[74:75], 19, v16                         // 0000000067DC: D0C1004A 00022093
	v_cndmask_b32_e64 v74, v31, v74, s[72:73]                  // 0000000067E4: D100004A 0122951F
	v_cndmask_b32_e64 v75, v31, v75, s[74:75]                  // 0000000067EC: D100004B 012A971F
	v_cmp_lt_i32_e64 s[72:73], 24, v16                         // 0000000067F4: D0C10048 00022098
	v_cmp_lt_i32_e64 s[74:75], 25, v16                         // 0000000067FC: D0C1004A 00022099
	v_cndmask_b32_e64 v76, v31, v76, s[72:73]                  // 000000006804: D100004C 0122991F
	v_cndmask_b32_e64 v77, v31, v77, s[74:75]                  // 00000000680C: D100004D 012A9B1F
	v_cmp_lt_i32_e64 s[72:73], 26, v16                         // 000000006814: D0C10048 0002209A
	v_cmp_lt_i32_e64 s[74:75], 27, v16                         // 00000000681C: D0C1004A 0002209B
	v_cndmask_b32_e64 v78, v31, v78, s[72:73]                  // 000000006824: D100004E 01229D1F
	v_cndmask_b32_e64 v79, v31, v79, s[74:75]                  // 00000000682C: D100004F 012A9F1F

0000000000006834 <label_0D4D>:
	s_nop 0                                                    // 000000006834: BF800000
	s_nop 14                                                   // 000000006838: BF80000E
	s_mov_b32 m0, s68                                          // 00000000683C: BEFC0044
	ds_read_b64 v[192:193], v13 offset:17408                   // 000000006840: D8EC4400 C000000D
	ds_read_b64 v[194:195], v13 offset:18432                   // 000000006848: D8EC4800 C200000D
	ds_read_b64 v[196:197], v13 offset:19456                   // 000000006850: D8EC4C00 C400000D
	ds_read_b64 v[198:199], v13 offset:20480                   // 000000006858: D8EC5000 C600000D
	ds_read_b64 v[200:201], v13 offset:17536                   // 000000006860: D8EC4480 C800000D
	ds_read_b64 v[202:203], v13 offset:18560                   // 000000006868: D8EC4880 CA00000D
	ds_read_b64 v[204:205], v13 offset:19584                   // 000000006870: D8EC4C80 CC00000D
	ds_read_b64 v[206:207], v13 offset:20608                   // 000000006878: D8EC5080 CE00000D
	s_nop 15                                                   // 000000006880: BF80000F
	s_nop 15                                                   // 000000006884: BF80000F
	buffer_load_dword v4, s[12:15], s60 offen lds              // 000000006888: E0511000 3C030004
	s_add_u32 m0, 0x880, m0                                    // 000000006890: 807C7CFF 00000880
	ds_read_b64 v[208:209], v13 offset:17664                   // 000000006898: D8EC4500 D000000D
	ds_read_b64 v[210:211], v13 offset:18688                   // 0000000068A0: D8EC4900 D200000D
	ds_read_b64 v[212:213], v13 offset:19712                   // 0000000068A8: D8EC4D00 D400000D
	ds_read_b64 v[214:215], v13 offset:20736                   // 0000000068B0: D8EC5100 D600000D
	buffer_load_dword v5, s[12:15], s60 offen lds              // 0000000068B8: E0511000 3C030005
	s_add_u32 m0, 0x880, m0                                    // 0000000068C0: 807C7CFF 00000880
	ds_read_b64 v[216:217], v13 offset:17792                   // 0000000068C8: D8EC4580 D800000D
	ds_read_b64 v[218:219], v13 offset:18816                   // 0000000068D0: D8EC4980 DA00000D
	ds_read_b64 v[220:221], v13 offset:19840                   // 0000000068D8: D8EC4D80 DC00000D
	ds_read_b64 v[222:223], v13 offset:20864                   // 0000000068E0: D8EC5180 DE00000D
	buffer_load_dword v6, s[12:15], s60 offen lds              // 0000000068E8: E0511000 3C030006
	s_add_u32 m0, 0x880, m0                                    // 0000000068F0: 807C7CFF 00000880
	buffer_load_dword v7, s[12:15], s60 offen lds              // 0000000068F8: E0511000 3C030007
	s_add_u32 m0, 0x880, m0                                    // 000000006900: 807C7CFF 00000880
	s_add_i32 s60, s43, s60                                    // 000000006908: 813C3C2B
	s_add_u32 s40, 0x80, s39                                   // 00000000690C: 802827FF 00000080
	s_cmp_lt_u32 s40, s38                                      // 000000006914: BF0A2628
	s_cselect_b32 s43, s43, 0                                  // 000000006918: 852B802B
	s_add_i32 s52, s52, s53                                    // 00000000691C: 81343534
	s_addk_i32 s39, 0x20                                       // 000000006920: B7270020
	s_cmp_lt_i32 s39, s38                                      // 000000006924: BF042627
	s_waitcnt vmcnt(8) lgkmcnt(0)                              // 000000006928: BF8C0078
	s_barrier                                                  // 00000000692C: BF8A0000
	v_mfma_f32_32x32x8_bf16 v[96:111], v[192:193], v[80:81], v[96:111]// 000000006930: D3E00060 0582A1C0
	v_max3_f32 v25, v64, v65, v28                              // 000000006938: D1D30019 04728340
	v_max3_f32 v25, v66, v67, v25                              // 000000006940: D1D30019 04668742
	v_max3_f32 v25, v68, v69, v25                              // 000000006948: D1D30019 04668B44
	v_max3_f32 v25, v70, v71, v25                              // 000000006950: D1D30019 04668F46
	v_max3_f32 v25, v72, v73, v25                              // 000000006958: D1D30019 04669348
	v_max3_f32 v25, v74, v75, v25                              // 000000006960: D1D30019 0466974A
	v_max3_f32 v25, v76, v77, v25                              // 000000006968: D1D30019 04669B4C
	v_mfma_f32_32x32x8_bf16 v[96:111], v[194:195], v[82:83], v[96:111]// 000000006970: D3E00060 0582A5C2
	v_max3_f32 v25, v78, v79, v25                              // 000000006978: D1D30019 04669F4E
	ds_permute_b32 v24, v32, v25                               // 000000006980: D87C0000 18001920
	v_mfma_f32_32x32x8_bf16 v[96:111], v[196:197], v[84:85], v[96:111]// 000000006988: D3E00060 0582A9C4
	v_nop                                                      // 000000006990: 7E000000
	s_nop 0                                                    // 000000006994: BF800000
	v_mfma_f32_32x32x8_bf16 v[96:111], v[198:199], v[86:87], v[96:111]// 000000006998: D3E00060 0582ADC6
	v_nop                                                      // 0000000069A0: 7E000000
	v_mfma_f32_32x32x8_bf16 v[112:127], v[200:201], v[80:81], v[112:127]// 0000000069A4: D3E00070 05C2A1C8
	s_waitcnt lgkmcnt(0)                                       // 0000000069AC: BF8CC07F
	v_max_f32_e32 v25, v24, v25                                // 0000000069B0: 16323318
	v_sub_f32_e32 v20, v28, v25                                // 0000000069B4: 0428331C
	v_mov_b32_e32 v28, v25                                     // 0000000069B8: 7E380319
	v_mul_f32_e32 v27, s56, v25                                // 0000000069BC: 0A363238
	v_mul_f32_e32 v20, s56, v20                                // 0000000069C0: 0A282838
	v_mfma_f32_32x32x8_bf16 v[112:127], v[202:203], v[82:83], v[112:127]// 0000000069C4: D3E00070 05C2A5CA
	v_exp_f32_e32 v20, v20                                     // 0000000069CC: 7E284114
	v_fma_f32 v64, v64, s56, -v27                              // 0000000069D0: D1CB0040 846C7140
	v_fma_f32 v65, v65, s56, -v27                              // 0000000069D8: D1CB0041 846C7141
	v_fma_f32 v66, v66, s56, -v27                              // 0000000069E0: D1CB0042 846C7142
	v_mfma_f32_32x32x8_bf16 v[112:127], v[204:205], v[84:85], v[112:127]// 0000000069E8: D3E00070 05C2A9CC
	v_fma_f32 v67, v67, s56, -v27                              // 0000000069F0: D1CB0043 846C7143
	v_fma_f32 v68, v68, s56, -v27                              // 0000000069F8: D1CB0044 846C7144
	v_fma_f32 v69, v69, s56, -v27                              // 000000006A00: D1CB0045 846C7145
	v_fma_f32 v70, v70, s56, -v27                              // 000000006A08: D1CB0046 846C7146
	v_fma_f32 v71, v71, s56, -v27                              // 000000006A10: D1CB0047 846C7147
	v_fma_f32 v72, v72, s56, -v27                              // 000000006A18: D1CB0048 846C7148
	v_fma_f32 v73, v73, s56, -v27                              // 000000006A20: D1CB0049 846C7149
	v_mfma_f32_32x32x8_bf16 v[112:127], v[206:207], v[86:87], v[112:127]// 000000006A28: D3E00070 05C2ADCE
	v_fma_f32 v74, v74, s56, -v27                              // 000000006A30: D1CB004A 846C714A
	v_fma_f32 v75, v75, s56, -v27                              // 000000006A38: D1CB004B 846C714B
	v_fma_f32 v76, v76, s56, -v27                              // 000000006A40: D1CB004C 846C714C
	v_fma_f32 v77, v77, s56, -v27                              // 000000006A48: D1CB004D 846C714D
	v_fma_f32 v78, v78, s56, -v27                              // 000000006A50: D1CB004E 846C714E
	v_fma_f32 v79, v79, s56, -v27                              // 000000006A58: D1CB004F 846C714F
	v_exp_f32_e32 v64, v64                                     // 000000006A60: 7E804140
	v_mfma_f32_32x32x8_bf16 v[128:143], v[208:209], v[80:81], v[128:143]// 000000006A64: D3E00080 0602A1D0
	v_exp_f32_e32 v65, v65                                     // 000000006A6C: 7E824141
	v_exp_f32_e32 v66, v66                                     // 000000006A70: 7E844142
	v_mfma_f32_32x32x8_bf16 v[128:143], v[210:211], v[82:83], v[128:143]// 000000006A74: D3E00080 0602A5D2
	v_exp_f32_e32 v67, v67                                     // 000000006A7C: 7E864143
	v_exp_f32_e32 v68, v68                                     // 000000006A80: 7E884144
	v_mfma_f32_32x32x8_bf16 v[128:143], v[212:213], v[84:85], v[128:143]// 000000006A84: D3E00080 0602A9D4
	v_exp_f32_e32 v69, v69                                     // 000000006A8C: 7E8A4145
	v_exp_f32_e32 v70, v70                                     // 000000006A90: 7E8C4146
	v_mfma_f32_32x32x8_bf16 v[128:143], v[214:215], v[86:87], v[128:143]// 000000006A94: D3E00080 0602ADD6
	v_exp_f32_e32 v71, v71                                     // 000000006A9C: 7E8E4147
	v_exp_f32_e32 v72, v72                                     // 000000006AA0: 7E904148
	v_mfma_f32_32x32x8_bf16 v[144:159], v[216:217], v[80:81], v[144:159]// 000000006AA4: D3E00090 0642A1D8
	v_exp_f32_e32 v73, v73                                     // 000000006AAC: 7E924149
	v_exp_f32_e32 v74, v74                                     // 000000006AB0: 7E94414A
	v_mfma_f32_32x32x8_bf16 v[144:159], v[218:219], v[82:83], v[144:159]// 000000006AB4: D3E00090 0642A5DA
	v_exp_f32_e32 v75, v75                                     // 000000006ABC: 7E96414B
	v_exp_f32_e32 v76, v76                                     // 000000006AC0: 7E98414C
	v_mfma_f32_32x32x8_bf16 v[144:159], v[220:221], v[84:85], v[144:159]// 000000006AC4: D3E00090 0642A9DC
	v_exp_f32_e32 v77, v77                                     // 000000006ACC: 7E9A414D
	v_exp_f32_e32 v78, v78                                     // 000000006AD0: 7E9C414E
	v_mfma_f32_32x32x8_bf16 v[144:159], v[222:223], v[86:87], v[144:159]// 000000006AD4: D3E00090 0642ADDE
	v_nop                                                      // 000000006ADC: 7E000000
	s_cbranch_scc0 label_0DFA                                  // 000000006AE0: BF840001
	s_branch label_0913                                        // 000000006AE4: BF82FB19

0000000000006ae8 <label_0DFA>:
	s_add_u32 s40, s38, 31                                     // 000000006AE8: 80289F26
	s_lshr_b32 s40, s40, 5                                     // 000000006AEC: 8F288528
	s_and_b32 s40, 1, s40                                      // 000000006AF0: 86282881
	s_cmp_lt_i32 s40, 1                                        // 000000006AF4: BF048128
	s_cbranch_scc0 label_0F3B                                  // 000000006AF8: BF84013C
	s_waitcnt vmcnt(4)                                         // 000000006AFC: BF8C0F74
	s_barrier                                                  // 000000006B00: BF8A0000
	v_perm_b32 v232, v229, v228, s50                           // 000000006B04: D1ED00E8 00CBC9E5
	v_perm_b32 v234, v229, v228, s49                           // 000000006B0C: D1ED00EA 00C7C9E5
	v_perm_b32 v233, v231, v230, s50                           // 000000006B14: D1ED00E9 00CBCDE7
	v_perm_b32 v235, v231, v230, s49                           // 000000006B1C: D1ED00EB 00C7CDE7
	ds_write_b64 v14, v[232:233] offset:17408                  // 000000006B24: D89A4400 0000E80E
	ds_write_b64 v14, v[234:235] offset:21568                  // 000000006B2C: D89A5440 0000EA0E
	s_waitcnt lgkmcnt(0)                                       // 000000006B34: BF8CC07F
	s_barrier                                                  // 000000006B38: BF8A0000
	ds_read_b64 v[192:193], v13 offset:17408                   // 000000006B3C: D8EC4400 C000000D
	ds_read_b64 v[194:195], v13 offset:18432                   // 000000006B44: D8EC4800 C200000D
	ds_read_b64 v[196:197], v13 offset:19456                   // 000000006B4C: D8EC4C00 C400000D
	ds_read_b64 v[198:199], v13 offset:20480                   // 000000006B54: D8EC5000 C600000D
	ds_read_b64 v[200:201], v13 offset:17536                   // 000000006B5C: D8EC4480 C800000D
	ds_read_b64 v[202:203], v13 offset:18560                   // 000000006B64: D8EC4880 CA00000D
	ds_read_b64 v[204:205], v13 offset:19584                   // 000000006B6C: D8EC4C80 CC00000D
	ds_read_b64 v[206:207], v13 offset:20608                   // 000000006B74: D8EC5080 CE00000D
	ds_read_b64 v[208:209], v13 offset:17664                   // 000000006B7C: D8EC4500 D000000D
	ds_read_b64 v[210:211], v13 offset:18688                   // 000000006B84: D8EC4900 D200000D
	ds_read_b64 v[212:213], v13 offset:19712                   // 000000006B8C: D8EC4D00 D400000D
	ds_read_b64 v[214:215], v13 offset:20736                   // 000000006B94: D8EC5100 D600000D
	ds_read_b64 v[216:217], v13 offset:17792                   // 000000006B9C: D8EC4580 D800000D
	ds_read_b64 v[218:219], v13 offset:18816                   // 000000006BA4: D8EC4980 DA00000D
	ds_read_b64 v[220:221], v13 offset:19840                   // 000000006BAC: D8EC4D80 DC00000D
	ds_read_b64 v[222:223], v13 offset:20864                   // 000000006BB4: D8EC5180 DE00000D
	v_exp_f32_e32 v95, v95                                     // 000000006BBC: 7EBE415F
	v_mul_f32_e32 v22, v20, v22                                // 000000006BC0: 0A2C2D14
	v_add_f32_e32 v38, v81, v80                                // 000000006BC4: 024CA151
	v_add_f32_e32 v38, v82, v38                                // 000000006BC8: 024C4D52
	v_add_f32_e32 v38, v83, v38                                // 000000006BCC: 024C4D53
	v_add_f32_e32 v38, v84, v38                                // 000000006BD0: 024C4D54
	v_add_f32_e32 v38, v85, v38                                // 000000006BD4: 024C4D55
	v_add_f32_e32 v38, v86, v38                                // 000000006BD8: 024C4D56
	v_add_f32_e32 v38, v87, v38                                // 000000006BDC: 024C4D57
	v_add_f32_e32 v38, v88, v38                                // 000000006BE0: 024C4D58
	v_add_f32_e32 v38, v89, v38                                // 000000006BE4: 024C4D59
	v_add_f32_e32 v38, v90, v38                                // 000000006BE8: 024C4D5A
	v_add_f32_e32 v38, v91, v38                                // 000000006BEC: 024C4D5B
	v_add_f32_e32 v38, v92, v38                                // 000000006BF0: 024C4D5C
	v_add_f32_e32 v38, v93, v38                                // 000000006BF4: 024C4D5D
	v_add_f32_e32 v38, v94, v38                                // 000000006BF8: 024C4D5E
	v_add_f32_e32 v38, v95, v38                                // 000000006BFC: 024C4D5F
	v_add_f32_e32 v22, v38, v22                                // 000000006C00: 022C2D26
	v_mul_f32_e32 v96, v20, v96                                // 000000006C04: 0AC0C114
	v_mul_f32_e32 v97, v20, v97                                // 000000006C08: 0AC2C314
	v_mul_f32_e32 v98, v20, v98                                // 000000006C0C: 0AC4C514
	v_mul_f32_e32 v99, v20, v99                                // 000000006C10: 0AC6C714
	v_mul_f32_e32 v100, v20, v100                              // 000000006C14: 0AC8C914
	v_mul_f32_e32 v101, v20, v101                              // 000000006C18: 0ACACB14
	v_mul_f32_e32 v102, v20, v102                              // 000000006C1C: 0ACCCD14
	v_mul_f32_e32 v103, v20, v103                              // 000000006C20: 0ACECF14
	v_mul_f32_e32 v104, v20, v104                              // 000000006C24: 0AD0D114
	v_mul_f32_e32 v105, v20, v105                              // 000000006C28: 0AD2D314
	v_mul_f32_e32 v106, v20, v106                              // 000000006C2C: 0AD4D514
	v_mul_f32_e32 v107, v20, v107                              // 000000006C30: 0AD6D714
	v_mul_f32_e32 v108, v20, v108                              // 000000006C34: 0AD8D914
	v_mul_f32_e32 v109, v20, v109                              // 000000006C38: 0ADADB14
	v_mul_f32_e32 v110, v20, v110                              // 000000006C3C: 0ADCDD14
	v_mul_f32_e32 v111, v20, v111                              // 000000006C40: 0ADEDF14
	v_mul_f32_e32 v112, v20, v112                              // 000000006C44: 0AE0E114
	v_mul_f32_e32 v113, v20, v113                              // 000000006C48: 0AE2E314
	v_mul_f32_e32 v114, v20, v114                              // 000000006C4C: 0AE4E514
	v_mul_f32_e32 v115, v20, v115                              // 000000006C50: 0AE6E714
	v_mul_f32_e32 v116, v20, v116                              // 000000006C54: 0AE8E914
	v_mul_f32_e32 v117, v20, v117                              // 000000006C58: 0AEAEB14
	v_mul_f32_e32 v118, v20, v118                              // 000000006C5C: 0AECED14
	v_mul_f32_e32 v119, v20, v119                              // 000000006C60: 0AEEEF14
	v_mul_f32_e32 v120, v20, v120                              // 000000006C64: 0AF0F114
	v_mul_f32_e32 v121, v20, v121                              // 000000006C68: 0AF2F314
	v_mul_f32_e32 v122, v20, v122                              // 000000006C6C: 0AF4F514
	v_mul_f32_e32 v123, v20, v123                              // 000000006C70: 0AF6F714
	v_mul_f32_e32 v124, v20, v124                              // 000000006C74: 0AF8F914
	v_mul_f32_e32 v125, v20, v125                              // 000000006C78: 0AFAFB14
	v_mul_f32_e32 v126, v20, v126                              // 000000006C7C: 0AFCFD14
	v_mul_f32_e32 v127, v20, v127                              // 000000006C80: 0AFEFF14
	v_mul_f32_e32 v128, v20, v128                              // 000000006C84: 0B010114
	v_mul_f32_e32 v129, v20, v129                              // 000000006C88: 0B030314
	v_mul_f32_e32 v130, v20, v130                              // 000000006C8C: 0B050514
	v_mul_f32_e32 v131, v20, v131                              // 000000006C90: 0B070714
	v_mul_f32_e32 v132, v20, v132                              // 000000006C94: 0B090914
	v_mul_f32_e32 v133, v20, v133                              // 000000006C98: 0B0B0B14
	v_mul_f32_e32 v134, v20, v134                              // 000000006C9C: 0B0D0D14
	v_mul_f32_e32 v135, v20, v135                              // 000000006CA0: 0B0F0F14
	v_mul_f32_e32 v136, v20, v136                              // 000000006CA4: 0B111114
	v_mul_f32_e32 v137, v20, v137                              // 000000006CA8: 0B131314
	v_mul_f32_e32 v138, v20, v138                              // 000000006CAC: 0B151514
	v_mul_f32_e32 v139, v20, v139                              // 000000006CB0: 0B171714
	v_mul_f32_e32 v140, v20, v140                              // 000000006CB4: 0B191914
	v_mul_f32_e32 v141, v20, v141                              // 000000006CB8: 0B1B1B14
	v_mul_f32_e32 v142, v20, v142                              // 000000006CBC: 0B1D1D14
	v_mul_f32_e32 v143, v20, v143                              // 000000006CC0: 0B1F1F14
	v_mul_f32_e32 v144, v20, v144                              // 000000006CC4: 0B212114
	v_mul_f32_e32 v145, v20, v145                              // 000000006CC8: 0B232314
	v_mul_f32_e32 v146, v20, v146                              // 000000006CCC: 0B252514
	v_mul_f32_e32 v147, v20, v147                              // 000000006CD0: 0B272714
	v_mul_f32_e32 v148, v20, v148                              // 000000006CD4: 0B292914
	v_mul_f32_e32 v149, v20, v149                              // 000000006CD8: 0B2B2B14
	v_mul_f32_e32 v150, v20, v150                              // 000000006CDC: 0B2D2D14
	v_mul_f32_e32 v151, v20, v151                              // 000000006CE0: 0B2F2F14
	v_mul_f32_e32 v152, v20, v152                              // 000000006CE4: 0B313114
	v_mul_f32_e32 v153, v20, v153                              // 000000006CE8: 0B333314
	v_mul_f32_e32 v154, v20, v154                              // 000000006CEC: 0B353514
	v_mul_f32_e32 v155, v20, v155                              // 000000006CF0: 0B373714
	v_mul_f32_e32 v156, v20, v156                              // 000000006CF4: 0B393914
	v_mul_f32_e32 v157, v20, v157                              // 000000006CF8: 0B3B3B14
	v_mul_f32_e32 v158, v20, v158                              // 000000006CFC: 0B3D3D14
	v_mul_f32_e32 v159, v20, v159                              // 000000006D00: 0B3F3F14
	v_cmp_u_f32_e64 s[70:71], v80, v80                         // 000000006D04: D0480046 0002A150
	v_bfe_u32 v40, v80, 16, 1                                  // 000000006D0C: D1C80028 02052150
	v_add3_u32 v40, v80, v40, v43                              // 000000006D14: D1FF0028 04AE5150
	v_cndmask_b32_e64 v16, v40, v42, s[70:71]                  // 000000006D1C: D1000010 011A5528
	v_lshrrev_b32_e32 v16, 16, v16                             // 000000006D24: 20202090
	v_cmp_u_f32_e64 s[70:71], v81, v81                         // 000000006D28: D0480046 0002A351
	v_bfe_u32 v40, v81, 16, 1                                  // 000000006D30: D1C80028 02052151
	v_add3_u32 v40, v81, v40, v43                              // 000000006D38: D1FF0028 04AE5151
	v_cndmask_b32_e64 v17, v40, v42, s[70:71]                  // 000000006D40: D1000011 011A5528
	v_and_or_b32 v80, v17, v41, v16                            // 000000006D48: D2010050 04425311
	v_cmp_u_f32_e64 s[70:71], v82, v82                         // 000000006D50: D0480046 0002A552
	v_bfe_u32 v40, v82, 16, 1                                  // 000000006D58: D1C80028 02052152
	v_add3_u32 v40, v82, v40, v43                              // 000000006D60: D1FF0028 04AE5152
	v_cndmask_b32_e64 v16, v40, v42, s[70:71]                  // 000000006D68: D1000010 011A5528
	v_lshrrev_b32_e32 v16, 16, v16                             // 000000006D70: 20202090
	v_cmp_u_f32_e64 s[70:71], v83, v83                         // 000000006D74: D0480046 0002A753
	v_bfe_u32 v40, v83, 16, 1                                  // 000000006D7C: D1C80028 02052153
	v_add3_u32 v40, v83, v40, v43                              // 000000006D84: D1FF0028 04AE5153
	v_cndmask_b32_e64 v17, v40, v42, s[70:71]                  // 000000006D8C: D1000011 011A5528
	v_and_or_b32 v81, v17, v41, v16                            // 000000006D94: D2010051 04425311
	v_cmp_u_f32_e64 s[70:71], v84, v84                         // 000000006D9C: D0480046 0002A954
	v_bfe_u32 v40, v84, 16, 1                                  // 000000006DA4: D1C80028 02052154
	v_add3_u32 v40, v84, v40, v43                              // 000000006DAC: D1FF0028 04AE5154
	v_cndmask_b32_e64 v16, v40, v42, s[70:71]                  // 000000006DB4: D1000010 011A5528
	v_lshrrev_b32_e32 v16, 16, v16                             // 000000006DBC: 20202090
	v_cmp_u_f32_e64 s[70:71], v85, v85                         // 000000006DC0: D0480046 0002AB55
	v_bfe_u32 v40, v85, 16, 1                                  // 000000006DC8: D1C80028 02052155
	v_add3_u32 v40, v85, v40, v43                              // 000000006DD0: D1FF0028 04AE5155
	v_cndmask_b32_e64 v17, v40, v42, s[70:71]                  // 000000006DD8: D1000011 011A5528
	v_and_or_b32 v82, v17, v41, v16                            // 000000006DE0: D2010052 04425311
	v_cmp_u_f32_e64 s[70:71], v86, v86                         // 000000006DE8: D0480046 0002AD56
	v_bfe_u32 v40, v86, 16, 1                                  // 000000006DF0: D1C80028 02052156
	v_add3_u32 v40, v86, v40, v43                              // 000000006DF8: D1FF0028 04AE5156
	v_cndmask_b32_e64 v16, v40, v42, s[70:71]                  // 000000006E00: D1000010 011A5528
	v_lshrrev_b32_e32 v16, 16, v16                             // 000000006E08: 20202090
	v_cmp_u_f32_e64 s[70:71], v87, v87                         // 000000006E0C: D0480046 0002AF57
	v_bfe_u32 v40, v87, 16, 1                                  // 000000006E14: D1C80028 02052157
	v_add3_u32 v40, v87, v40, v43                              // 000000006E1C: D1FF0028 04AE5157
	v_cndmask_b32_e64 v17, v40, v42, s[70:71]                  // 000000006E24: D1000011 011A5528
	v_and_or_b32 v83, v17, v41, v16                            // 000000006E2C: D2010053 04425311
	v_cmp_u_f32_e64 s[70:71], v88, v88                         // 000000006E34: D0480046 0002B158
	v_bfe_u32 v40, v88, 16, 1                                  // 000000006E3C: D1C80028 02052158
	v_add3_u32 v40, v88, v40, v43                              // 000000006E44: D1FF0028 04AE5158
	v_cndmask_b32_e64 v16, v40, v42, s[70:71]                  // 000000006E4C: D1000010 011A5528
	v_lshrrev_b32_e32 v16, 16, v16                             // 000000006E54: 20202090
	v_cmp_u_f32_e64 s[70:71], v89, v89                         // 000000006E58: D0480046 0002B359
	v_bfe_u32 v40, v89, 16, 1                                  // 000000006E60: D1C80028 02052159
	v_add3_u32 v40, v89, v40, v43                              // 000000006E68: D1FF0028 04AE5159
	v_cndmask_b32_e64 v17, v40, v42, s[70:71]                  // 000000006E70: D1000011 011A5528
	v_and_or_b32 v84, v17, v41, v16                            // 000000006E78: D2010054 04425311
	v_cmp_u_f32_e64 s[70:71], v90, v90                         // 000000006E80: D0480046 0002B55A
	v_bfe_u32 v40, v90, 16, 1                                  // 000000006E88: D1C80028 0205215A
	v_add3_u32 v40, v90, v40, v43                              // 000000006E90: D1FF0028 04AE515A
	v_cndmask_b32_e64 v16, v40, v42, s[70:71]                  // 000000006E98: D1000010 011A5528
	v_lshrrev_b32_e32 v16, 16, v16                             // 000000006EA0: 20202090
	v_cmp_u_f32_e64 s[70:71], v91, v91                         // 000000006EA4: D0480046 0002B75B
	v_bfe_u32 v40, v91, 16, 1                                  // 000000006EAC: D1C80028 0205215B
	v_add3_u32 v40, v91, v40, v43                              // 000000006EB4: D1FF0028 04AE515B
	v_cndmask_b32_e64 v17, v40, v42, s[70:71]                  // 000000006EBC: D1000011 011A5528
	v_and_or_b32 v85, v17, v41, v16                            // 000000006EC4: D2010055 04425311
	v_cmp_u_f32_e64 s[70:71], v92, v92                         // 000000006ECC: D0480046 0002B95C
	v_bfe_u32 v40, v92, 16, 1                                  // 000000006ED4: D1C80028 0205215C
	v_add3_u32 v40, v92, v40, v43                              // 000000006EDC: D1FF0028 04AE515C
	v_cndmask_b32_e64 v16, v40, v42, s[70:71]                  // 000000006EE4: D1000010 011A5528
	v_lshrrev_b32_e32 v16, 16, v16                             // 000000006EEC: 20202090
	v_cmp_u_f32_e64 s[70:71], v93, v93                         // 000000006EF0: D0480046 0002BB5D
	v_bfe_u32 v40, v93, 16, 1                                  // 000000006EF8: D1C80028 0205215D
	v_add3_u32 v40, v93, v40, v43                              // 000000006F00: D1FF0028 04AE515D
	v_cndmask_b32_e64 v17, v40, v42, s[70:71]                  // 000000006F08: D1000011 011A5528
	v_and_or_b32 v86, v17, v41, v16                            // 000000006F10: D2010056 04425311
	v_cmp_u_f32_e64 s[70:71], v94, v94                         // 000000006F18: D0480046 0002BD5E
	v_bfe_u32 v40, v94, 16, 1                                  // 000000006F20: D1C80028 0205215E
	v_add3_u32 v40, v94, v40, v43                              // 000000006F28: D1FF0028 04AE515E
	v_cndmask_b32_e64 v16, v40, v42, s[70:71]                  // 000000006F30: D1000010 011A5528
	v_lshrrev_b32_e32 v16, 16, v16                             // 000000006F38: 20202090
	v_cmp_u_f32_e64 s[70:71], v95, v95                         // 000000006F3C: D0480046 0002BF5F
	v_bfe_u32 v40, v95, 16, 1                                  // 000000006F44: D1C80028 0205215F
	v_add3_u32 v40, v95, v40, v43                              // 000000006F4C: D1FF0028 04AE515F
	v_cndmask_b32_e64 v17, v40, v42, s[70:71]                  // 000000006F54: D1000011 011A5528
	v_and_or_b32 v87, v17, v41, v16                            // 000000006F5C: D2010057 04425311
	s_waitcnt lgkmcnt(0)                                       // 000000006F64: BF8CC07F
	v_mfma_f32_32x32x8_bf16 v[96:111], v[192:193], v[80:81], v[96:111]// 000000006F68: D3E00060 0582A1C0
	v_mfma_f32_32x32x8_bf16 v[96:111], v[194:195], v[82:83], v[96:111]// 000000006F70: D3E00060 0582A5C2
	v_mfma_f32_32x32x8_bf16 v[96:111], v[196:197], v[84:85], v[96:111]// 000000006F78: D3E00060 0582A9C4
	v_mfma_f32_32x32x8_bf16 v[96:111], v[198:199], v[86:87], v[96:111]// 000000006F80: D3E00060 0582ADC6
	v_mfma_f32_32x32x8_bf16 v[112:127], v[200:201], v[80:81], v[112:127]// 000000006F88: D3E00070 05C2A1C8
	v_mfma_f32_32x32x8_bf16 v[112:127], v[202:203], v[82:83], v[112:127]// 000000006F90: D3E00070 05C2A5CA
	v_mfma_f32_32x32x8_bf16 v[112:127], v[204:205], v[84:85], v[112:127]// 000000006F98: D3E00070 05C2A9CC
	v_mfma_f32_32x32x8_bf16 v[112:127], v[206:207], v[86:87], v[112:127]// 000000006FA0: D3E00070 05C2ADCE
	v_mfma_f32_32x32x8_bf16 v[128:143], v[208:209], v[80:81], v[128:143]// 000000006FA8: D3E00080 0602A1D0
	v_mfma_f32_32x32x8_bf16 v[128:143], v[210:211], v[82:83], v[128:143]// 000000006FB0: D3E00080 0602A5D2
	v_mfma_f32_32x32x8_bf16 v[128:143], v[212:213], v[84:85], v[128:143]// 000000006FB8: D3E00080 0602A9D4
	v_mfma_f32_32x32x8_bf16 v[128:143], v[214:215], v[86:87], v[128:143]// 000000006FC0: D3E00080 0602ADD6
	v_mfma_f32_32x32x8_bf16 v[144:159], v[216:217], v[80:81], v[144:159]// 000000006FC8: D3E00090 0642A1D8
	v_mfma_f32_32x32x8_bf16 v[144:159], v[218:219], v[82:83], v[144:159]// 000000006FD0: D3E00090 0642A5DA
	v_mfma_f32_32x32x8_bf16 v[144:159], v[220:221], v[84:85], v[144:159]// 000000006FD8: D3E00090 0642A9DC
	v_mfma_f32_32x32x8_bf16 v[144:159], v[222:223], v[86:87], v[144:159]// 000000006FE0: D3E00090 0642ADDE
	s_branch label_1076                                        // 000000006FE8: BF82013B

0000000000006fec <label_0F3B>:
	s_waitcnt vmcnt(4)                                         // 000000006FEC: BF8C0F74
	s_barrier                                                  // 000000006FF0: BF8A0000
	v_perm_b32 v232, v225, v224, s50                           // 000000006FF4: D1ED00E8 00CBC1E1
	v_perm_b32 v234, v225, v224, s49                           // 000000006FFC: D1ED00EA 00C7C1E1
	v_perm_b32 v233, v227, v226, s50                           // 000000007004: D1ED00E9 00CBC5E3
	v_perm_b32 v235, v227, v226, s49                           // 00000000700C: D1ED00EB 00C7C5E3
	ds_write_b64 v14, v[232:233] offset:17408                  // 000000007014: D89A4400 0000E80E
	ds_write_b64 v14, v[234:235] offset:21568                  // 00000000701C: D89A5440 0000EA0E
	s_waitcnt lgkmcnt(0)                                       // 000000007024: BF8CC07F
	s_barrier                                                  // 000000007028: BF8A0000
	ds_read_b64 v[192:193], v13 offset:17408                   // 00000000702C: D8EC4400 C000000D
	ds_read_b64 v[194:195], v13 offset:18432                   // 000000007034: D8EC4800 C200000D
	ds_read_b64 v[196:197], v13 offset:19456                   // 00000000703C: D8EC4C00 C400000D
	ds_read_b64 v[198:199], v13 offset:20480                   // 000000007044: D8EC5000 C600000D
	ds_read_b64 v[200:201], v13 offset:17536                   // 00000000704C: D8EC4480 C800000D
	ds_read_b64 v[202:203], v13 offset:18560                   // 000000007054: D8EC4880 CA00000D
	ds_read_b64 v[204:205], v13 offset:19584                   // 00000000705C: D8EC4C80 CC00000D
	ds_read_b64 v[206:207], v13 offset:20608                   // 000000007064: D8EC5080 CE00000D
	ds_read_b64 v[208:209], v13 offset:17664                   // 00000000706C: D8EC4500 D000000D
	ds_read_b64 v[210:211], v13 offset:18688                   // 000000007074: D8EC4900 D200000D
	ds_read_b64 v[212:213], v13 offset:19712                   // 00000000707C: D8EC4D00 D400000D
	ds_read_b64 v[214:215], v13 offset:20736                   // 000000007084: D8EC5100 D600000D
	ds_read_b64 v[216:217], v13 offset:17792                   // 00000000708C: D8EC4580 D800000D
	ds_read_b64 v[218:219], v13 offset:18816                   // 000000007094: D8EC4980 DA00000D
	ds_read_b64 v[220:221], v13 offset:19840                   // 00000000709C: D8EC4D80 DC00000D
	ds_read_b64 v[222:223], v13 offset:20864                   // 0000000070A4: D8EC5180 DE00000D
	v_exp_f32_e32 v79, v79                                     // 0000000070AC: 7E9E414F
	v_mul_f32_e32 v22, v20, v22                                // 0000000070B0: 0A2C2D14
	v_add_f32_e32 v38, v65, v64                                // 0000000070B4: 024C8141
	v_add_f32_e32 v38, v66, v38                                // 0000000070B8: 024C4D42
	v_add_f32_e32 v38, v67, v38                                // 0000000070BC: 024C4D43
	v_add_f32_e32 v38, v68, v38                                // 0000000070C0: 024C4D44
	v_add_f32_e32 v38, v69, v38                                // 0000000070C4: 024C4D45
	v_add_f32_e32 v38, v70, v38                                // 0000000070C8: 024C4D46
	v_add_f32_e32 v38, v71, v38                                // 0000000070CC: 024C4D47
	v_add_f32_e32 v38, v72, v38                                // 0000000070D0: 024C4D48
	v_add_f32_e32 v38, v73, v38                                // 0000000070D4: 024C4D49
	v_add_f32_e32 v38, v74, v38                                // 0000000070D8: 024C4D4A
	v_add_f32_e32 v38, v75, v38                                // 0000000070DC: 024C4D4B
	v_add_f32_e32 v38, v76, v38                                // 0000000070E0: 024C4D4C
	v_add_f32_e32 v38, v77, v38                                // 0000000070E4: 024C4D4D
	v_add_f32_e32 v38, v78, v38                                // 0000000070E8: 024C4D4E
	v_add_f32_e32 v38, v79, v38                                // 0000000070EC: 024C4D4F
	v_add_f32_e32 v22, v38, v22                                // 0000000070F0: 022C2D26
	v_mul_f32_e32 v96, v20, v96                                // 0000000070F4: 0AC0C114
	v_mul_f32_e32 v97, v20, v97                                // 0000000070F8: 0AC2C314
	v_mul_f32_e32 v98, v20, v98                                // 0000000070FC: 0AC4C514
	v_mul_f32_e32 v99, v20, v99                                // 000000007100: 0AC6C714
	v_mul_f32_e32 v100, v20, v100                              // 000000007104: 0AC8C914
	v_mul_f32_e32 v101, v20, v101                              // 000000007108: 0ACACB14
	v_mul_f32_e32 v102, v20, v102                              // 00000000710C: 0ACCCD14
	v_mul_f32_e32 v103, v20, v103                              // 000000007110: 0ACECF14
	v_mul_f32_e32 v104, v20, v104                              // 000000007114: 0AD0D114
	v_mul_f32_e32 v105, v20, v105                              // 000000007118: 0AD2D314
	v_mul_f32_e32 v106, v20, v106                              // 00000000711C: 0AD4D514
	v_mul_f32_e32 v107, v20, v107                              // 000000007120: 0AD6D714
	v_mul_f32_e32 v108, v20, v108                              // 000000007124: 0AD8D914
	v_mul_f32_e32 v109, v20, v109                              // 000000007128: 0ADADB14
	v_mul_f32_e32 v110, v20, v110                              // 00000000712C: 0ADCDD14
	v_mul_f32_e32 v111, v20, v111                              // 000000007130: 0ADEDF14
	v_mul_f32_e32 v112, v20, v112                              // 000000007134: 0AE0E114
	v_mul_f32_e32 v113, v20, v113                              // 000000007138: 0AE2E314
	v_mul_f32_e32 v114, v20, v114                              // 00000000713C: 0AE4E514
	v_mul_f32_e32 v115, v20, v115                              // 000000007140: 0AE6E714
	v_mul_f32_e32 v116, v20, v116                              // 000000007144: 0AE8E914
	v_mul_f32_e32 v117, v20, v117                              // 000000007148: 0AEAEB14
	v_mul_f32_e32 v118, v20, v118                              // 00000000714C: 0AECED14
	v_mul_f32_e32 v119, v20, v119                              // 000000007150: 0AEEEF14
	v_mul_f32_e32 v120, v20, v120                              // 000000007154: 0AF0F114
	v_mul_f32_e32 v121, v20, v121                              // 000000007158: 0AF2F314
	v_mul_f32_e32 v122, v20, v122                              // 00000000715C: 0AF4F514
	v_mul_f32_e32 v123, v20, v123                              // 000000007160: 0AF6F714
	v_mul_f32_e32 v124, v20, v124                              // 000000007164: 0AF8F914
	v_mul_f32_e32 v125, v20, v125                              // 000000007168: 0AFAFB14
	v_mul_f32_e32 v126, v20, v126                              // 00000000716C: 0AFCFD14
	v_mul_f32_e32 v127, v20, v127                              // 000000007170: 0AFEFF14
	v_mul_f32_e32 v128, v20, v128                              // 000000007174: 0B010114
	v_mul_f32_e32 v129, v20, v129                              // 000000007178: 0B030314
	v_mul_f32_e32 v130, v20, v130                              // 00000000717C: 0B050514
	v_mul_f32_e32 v131, v20, v131                              // 000000007180: 0B070714
	v_mul_f32_e32 v132, v20, v132                              // 000000007184: 0B090914
	v_mul_f32_e32 v133, v20, v133                              // 000000007188: 0B0B0B14
	v_mul_f32_e32 v134, v20, v134                              // 00000000718C: 0B0D0D14
	v_mul_f32_e32 v135, v20, v135                              // 000000007190: 0B0F0F14
	v_mul_f32_e32 v136, v20, v136                              // 000000007194: 0B111114
	v_mul_f32_e32 v137, v20, v137                              // 000000007198: 0B131314
	v_mul_f32_e32 v138, v20, v138                              // 00000000719C: 0B151514
	v_mul_f32_e32 v139, v20, v139                              // 0000000071A0: 0B171714
	v_mul_f32_e32 v140, v20, v140                              // 0000000071A4: 0B191914
	v_mul_f32_e32 v141, v20, v141                              // 0000000071A8: 0B1B1B14
	v_mul_f32_e32 v142, v20, v142                              // 0000000071AC: 0B1D1D14
	v_mul_f32_e32 v143, v20, v143                              // 0000000071B0: 0B1F1F14
	v_mul_f32_e32 v144, v20, v144                              // 0000000071B4: 0B212114
	v_mul_f32_e32 v145, v20, v145                              // 0000000071B8: 0B232314
	v_mul_f32_e32 v146, v20, v146                              // 0000000071BC: 0B252514
	v_mul_f32_e32 v147, v20, v147                              // 0000000071C0: 0B272714
	v_mul_f32_e32 v148, v20, v148                              // 0000000071C4: 0B292914
	v_mul_f32_e32 v149, v20, v149                              // 0000000071C8: 0B2B2B14
	v_mul_f32_e32 v150, v20, v150                              // 0000000071CC: 0B2D2D14
	v_mul_f32_e32 v151, v20, v151                              // 0000000071D0: 0B2F2F14
	v_mul_f32_e32 v152, v20, v152                              // 0000000071D4: 0B313114
	v_mul_f32_e32 v153, v20, v153                              // 0000000071D8: 0B333314
	v_mul_f32_e32 v154, v20, v154                              // 0000000071DC: 0B353514
	v_mul_f32_e32 v155, v20, v155                              // 0000000071E0: 0B373714
	v_mul_f32_e32 v156, v20, v156                              // 0000000071E4: 0B393914
	v_mul_f32_e32 v157, v20, v157                              // 0000000071E8: 0B3B3B14
	v_mul_f32_e32 v158, v20, v158                              // 0000000071EC: 0B3D3D14
	v_mul_f32_e32 v159, v20, v159                              // 0000000071F0: 0B3F3F14
	v_cmp_u_f32_e64 s[70:71], v64, v64                         // 0000000071F4: D0480046 00028140
	v_bfe_u32 v40, v64, 16, 1                                  // 0000000071FC: D1C80028 02052140
	v_add3_u32 v40, v64, v40, v43                              // 000000007204: D1FF0028 04AE5140
	v_cndmask_b32_e64 v16, v40, v42, s[70:71]                  // 00000000720C: D1000010 011A5528
	v_lshrrev_b32_e32 v16, 16, v16                             // 000000007214: 20202090
	v_cmp_u_f32_e64 s[70:71], v65, v65                         // 000000007218: D0480046 00028341
	v_bfe_u32 v40, v65, 16, 1                                  // 000000007220: D1C80028 02052141
	v_add3_u32 v40, v65, v40, v43                              // 000000007228: D1FF0028 04AE5141
	v_cndmask_b32_e64 v17, v40, v42, s[70:71]                  // 000000007230: D1000011 011A5528
	v_and_or_b32 v64, v17, v41, v16                            // 000000007238: D2010040 04425311
	v_cmp_u_f32_e64 s[70:71], v66, v66                         // 000000007240: D0480046 00028542
	v_bfe_u32 v40, v66, 16, 1                                  // 000000007248: D1C80028 02052142
	v_add3_u32 v40, v66, v40, v43                              // 000000007250: D1FF0028 04AE5142
	v_cndmask_b32_e64 v16, v40, v42, s[70:71]                  // 000000007258: D1000010 011A5528
	v_lshrrev_b32_e32 v16, 16, v16                             // 000000007260: 20202090
	v_cmp_u_f32_e64 s[70:71], v67, v67                         // 000000007264: D0480046 00028743
	v_bfe_u32 v40, v67, 16, 1                                  // 00000000726C: D1C80028 02052143
	v_add3_u32 v40, v67, v40, v43                              // 000000007274: D1FF0028 04AE5143
	v_cndmask_b32_e64 v17, v40, v42, s[70:71]                  // 00000000727C: D1000011 011A5528
	v_and_or_b32 v65, v17, v41, v16                            // 000000007284: D2010041 04425311
	v_cmp_u_f32_e64 s[70:71], v68, v68                         // 00000000728C: D0480046 00028944
	v_bfe_u32 v40, v68, 16, 1                                  // 000000007294: D1C80028 02052144
	v_add3_u32 v40, v68, v40, v43                              // 00000000729C: D1FF0028 04AE5144
	v_cndmask_b32_e64 v16, v40, v42, s[70:71]                  // 0000000072A4: D1000010 011A5528
	v_lshrrev_b32_e32 v16, 16, v16                             // 0000000072AC: 20202090
	v_cmp_u_f32_e64 s[70:71], v69, v69                         // 0000000072B0: D0480046 00028B45
	v_bfe_u32 v40, v69, 16, 1                                  // 0000000072B8: D1C80028 02052145
	v_add3_u32 v40, v69, v40, v43                              // 0000000072C0: D1FF0028 04AE5145
	v_cndmask_b32_e64 v17, v40, v42, s[70:71]                  // 0000000072C8: D1000011 011A5528
	v_and_or_b32 v66, v17, v41, v16                            // 0000000072D0: D2010042 04425311
	v_cmp_u_f32_e64 s[70:71], v70, v70                         // 0000000072D8: D0480046 00028D46
	v_bfe_u32 v40, v70, 16, 1                                  // 0000000072E0: D1C80028 02052146
	v_add3_u32 v40, v70, v40, v43                              // 0000000072E8: D1FF0028 04AE5146
	v_cndmask_b32_e64 v16, v40, v42, s[70:71]                  // 0000000072F0: D1000010 011A5528
	v_lshrrev_b32_e32 v16, 16, v16                             // 0000000072F8: 20202090
	v_cmp_u_f32_e64 s[70:71], v71, v71                         // 0000000072FC: D0480046 00028F47
	v_bfe_u32 v40, v71, 16, 1                                  // 000000007304: D1C80028 02052147
	v_add3_u32 v40, v71, v40, v43                              // 00000000730C: D1FF0028 04AE5147
	v_cndmask_b32_e64 v17, v40, v42, s[70:71]                  // 000000007314: D1000011 011A5528
	v_and_or_b32 v67, v17, v41, v16                            // 00000000731C: D2010043 04425311
	v_cmp_u_f32_e64 s[70:71], v72, v72                         // 000000007324: D0480046 00029148
	v_bfe_u32 v40, v72, 16, 1                                  // 00000000732C: D1C80028 02052148
	v_add3_u32 v40, v72, v40, v43                              // 000000007334: D1FF0028 04AE5148
	v_cndmask_b32_e64 v16, v40, v42, s[70:71]                  // 00000000733C: D1000010 011A5528
	v_lshrrev_b32_e32 v16, 16, v16                             // 000000007344: 20202090
	v_cmp_u_f32_e64 s[70:71], v73, v73                         // 000000007348: D0480046 00029349
	v_bfe_u32 v40, v73, 16, 1                                  // 000000007350: D1C80028 02052149
	v_add3_u32 v40, v73, v40, v43                              // 000000007358: D1FF0028 04AE5149
	v_cndmask_b32_e64 v17, v40, v42, s[70:71]                  // 000000007360: D1000011 011A5528
	v_and_or_b32 v68, v17, v41, v16                            // 000000007368: D2010044 04425311
	v_cmp_u_f32_e64 s[70:71], v74, v74                         // 000000007370: D0480046 0002954A
	v_bfe_u32 v40, v74, 16, 1                                  // 000000007378: D1C80028 0205214A
	v_add3_u32 v40, v74, v40, v43                              // 000000007380: D1FF0028 04AE514A
	v_cndmask_b32_e64 v16, v40, v42, s[70:71]                  // 000000007388: D1000010 011A5528
	v_lshrrev_b32_e32 v16, 16, v16                             // 000000007390: 20202090
	v_cmp_u_f32_e64 s[70:71], v75, v75                         // 000000007394: D0480046 0002974B
	v_bfe_u32 v40, v75, 16, 1                                  // 00000000739C: D1C80028 0205214B
	v_add3_u32 v40, v75, v40, v43                              // 0000000073A4: D1FF0028 04AE514B
	v_cndmask_b32_e64 v17, v40, v42, s[70:71]                  // 0000000073AC: D1000011 011A5528
	v_and_or_b32 v69, v17, v41, v16                            // 0000000073B4: D2010045 04425311
	v_cmp_u_f32_e64 s[70:71], v76, v76                         // 0000000073BC: D0480046 0002994C
	v_bfe_u32 v40, v76, 16, 1                                  // 0000000073C4: D1C80028 0205214C
	v_add3_u32 v40, v76, v40, v43                              // 0000000073CC: D1FF0028 04AE514C
	v_cndmask_b32_e64 v16, v40, v42, s[70:71]                  // 0000000073D4: D1000010 011A5528
	v_lshrrev_b32_e32 v16, 16, v16                             // 0000000073DC: 20202090
	v_cmp_u_f32_e64 s[70:71], v77, v77                         // 0000000073E0: D0480046 00029B4D
	v_bfe_u32 v40, v77, 16, 1                                  // 0000000073E8: D1C80028 0205214D
	v_add3_u32 v40, v77, v40, v43                              // 0000000073F0: D1FF0028 04AE514D
	v_cndmask_b32_e64 v17, v40, v42, s[70:71]                  // 0000000073F8: D1000011 011A5528
	v_and_or_b32 v70, v17, v41, v16                            // 000000007400: D2010046 04425311
	v_cmp_u_f32_e64 s[70:71], v78, v78                         // 000000007408: D0480046 00029D4E
	v_bfe_u32 v40, v78, 16, 1                                  // 000000007410: D1C80028 0205214E
	v_add3_u32 v40, v78, v40, v43                              // 000000007418: D1FF0028 04AE514E
	v_cndmask_b32_e64 v16, v40, v42, s[70:71]                  // 000000007420: D1000010 011A5528
	v_lshrrev_b32_e32 v16, 16, v16                             // 000000007428: 20202090
	v_cmp_u_f32_e64 s[70:71], v79, v79                         // 00000000742C: D0480046 00029F4F
	v_bfe_u32 v40, v79, 16, 1                                  // 000000007434: D1C80028 0205214F
	v_add3_u32 v40, v79, v40, v43                              // 00000000743C: D1FF0028 04AE514F
	v_cndmask_b32_e64 v17, v40, v42, s[70:71]                  // 000000007444: D1000011 011A5528
	v_and_or_b32 v71, v17, v41, v16                            // 00000000744C: D2010047 04425311
	s_waitcnt lgkmcnt(0)                                       // 000000007454: BF8CC07F
	v_mfma_f32_32x32x8_bf16 v[96:111], v[192:193], v[64:65], v[96:111]// 000000007458: D3E00060 058281C0
	v_mfma_f32_32x32x8_bf16 v[96:111], v[194:195], v[66:67], v[96:111]// 000000007460: D3E00060 058285C2
	v_mfma_f32_32x32x8_bf16 v[96:111], v[196:197], v[68:69], v[96:111]// 000000007468: D3E00060 058289C4
	v_mfma_f32_32x32x8_bf16 v[96:111], v[198:199], v[70:71], v[96:111]// 000000007470: D3E00060 05828DC6
	v_mfma_f32_32x32x8_bf16 v[112:127], v[200:201], v[64:65], v[112:127]// 000000007478: D3E00070 05C281C8
	v_mfma_f32_32x32x8_bf16 v[112:127], v[202:203], v[66:67], v[112:127]// 000000007480: D3E00070 05C285CA
	v_mfma_f32_32x32x8_bf16 v[112:127], v[204:205], v[68:69], v[112:127]// 000000007488: D3E00070 05C289CC
	v_mfma_f32_32x32x8_bf16 v[112:127], v[206:207], v[70:71], v[112:127]// 000000007490: D3E00070 05C28DCE
	v_mfma_f32_32x32x8_bf16 v[128:143], v[208:209], v[64:65], v[128:143]// 000000007498: D3E00080 060281D0
	v_mfma_f32_32x32x8_bf16 v[128:143], v[210:211], v[66:67], v[128:143]// 0000000074A0: D3E00080 060285D2
	v_mfma_f32_32x32x8_bf16 v[128:143], v[212:213], v[68:69], v[128:143]// 0000000074A8: D3E00080 060289D4
	v_mfma_f32_32x32x8_bf16 v[128:143], v[214:215], v[70:71], v[128:143]// 0000000074B0: D3E00080 06028DD6
	v_mfma_f32_32x32x8_bf16 v[144:159], v[216:217], v[64:65], v[144:159]// 0000000074B8: D3E00090 064281D8
	v_mfma_f32_32x32x8_bf16 v[144:159], v[218:219], v[66:67], v[144:159]// 0000000074C0: D3E00090 064285DA
	v_mfma_f32_32x32x8_bf16 v[144:159], v[220:221], v[68:69], v[144:159]// 0000000074C8: D3E00090 064289DC
	v_mfma_f32_32x32x8_bf16 v[144:159], v[222:223], v[70:71], v[144:159]// 0000000074D0: D3E00090 06428DDE

00000000000074d8 <label_1076>:
	v_cvt_f32_u32_e32 v16, s62                                 // 0000000074D8: 7E200C3E
	s_sub_i32 s40, 0, s62                                      // 0000000074DC: 81A83E80
	v_rcp_iflag_f32_e32 v16, v16                               // 0000000074E0: 7E204710
	s_nop 0                                                    // 0000000074E4: BF800000
	v_mul_f32_e32 v16, 0x4f7ffffe, v16                         // 0000000074E8: 0A2020FF 4F7FFFFE
	v_cvt_u32_f32_e32 v16, v16                                 // 0000000074F0: 7E200F10
	v_mul_lo_u32 v17, s40, v16                                 // 0000000074F4: D2850011 00022028
	v_mul_hi_u32 v17, v16, v17                                 // 0000000074FC: D2860011 00022310
	v_add_u32_e32 v16, v16, v17                                // 000000007504: 68202310
	v_mul_hi_u32 v16, s63, v16                                 // 000000007508: D2860010 0002203F
	v_mul_lo_u32 v17, v16, s62                                 // 000000007510: D2850011 00007D10
	v_sub_u32_e32 v19, s63, v17                                // 000000007518: 6A26223F
	v_add_u32_e32 v18, 1, v16                                  // 00000000751C: 68242081
	v_cmp_le_u32_e32 vcc, s62, v19                             // 000000007520: 7D96263E
	v_subrev_u32_e32 v17, s62, v19                             // 000000007524: 6C22263E
	s_nop 0                                                    // 000000007528: BF800000
	v_cndmask_b32_e32 v16, v16, v18, vcc                       // 00000000752C: 00202510
	v_cndmask_b32_e32 v19, v19, v17, vcc                       // 000000007530: 00262313
	v_add_u32_e32 v17, 1, v16                                  // 000000007534: 68222081
	v_cmp_le_u32_e32 vcc, s62, v19                             // 000000007538: 7D96263E
	s_nop 1                                                    // 00000000753C: BF800001
	v_cndmask_b32_e32 v19, v16, v17, vcc                       // 000000007540: 00262310
	s_nop 3                                                    // 000000007544: BF800003
	v_readfirstlane_b32 s63, v19                               // 000000007548: 7E7E0513
	s_nop 3                                                    // 00000000754C: BF800003
	s_mul_i32 s63, s63, s83                                    // 000000007550: 923F533F
	v_lshrrev_b32_e32 v16, 3, v0                               // 000000007554: 20200083
	v_mul_i32_i24_e32 v8, s83, v16                             // 000000007558: 0C102053
	v_and_b32_e32 v16, 7, v0                                   // 00000000755C: 26200087
	v_mul_i32_i24_e32 v16, 16, v16                             // 000000007560: 0C202090
	v_add_u32_e32 v8, v16, v8                                  // 000000007564: 68101110
	s_mul_i32 s40, s5, s83                                     // 000000007568: 92285305
	s_mul_i32 s40, s40, 32                                     // 00000000756C: 9228A028
	s_add_u32 s40, s63, s40                                    // 000000007570: 8028283F
	v_add_u32_e32 v8, s40, v8                                  // 000000007574: 68101028
	s_mul_i32 s40, s83, 8                                      // 000000007578: 92288853
	v_add_u32_e32 v9, s40, v8                                  // 00000000757C: 68121028
	v_add_u32_e32 v10, s40, v9                                 // 000000007580: 68141228
	v_add_u32_e32 v11, s40, v10                                // 000000007584: 68161428
	s_mul_i32 s40, s4, 0x100                                   // 000000007588: 9228FF04 00000100
	v_and_b32_e32 v3, 31, v0                                   // 000000007590: 2606009F
	v_add_u32_e32 v3, s40, v3                                  // 000000007594: 68060628
	s_mul_i32 s40, s5, 32                                      // 000000007598: 9228A005
	v_add_u32_e32 v3, s40, v3                                  // 00000000759C: 68060628
	v_lshlrev_b32_e32 v3, 2, v3                                // 0000000075A0: 24060682
	ds_permute_b32 v16, v32, v22                               // 0000000075A4: D87C0000 10001620
	s_waitcnt lgkmcnt(0)                                       // 0000000075AC: BF8CC07F
	v_add_f32_e32 v22, v16, v22                                // 0000000075B0: 022C2D10
	v_mul_f32_e64 v16, v28, s28                                // 0000000075B4: D1050010 0000391C
	v_log_f32_e32 v17, v22                                     // 0000000075BC: 7E224316
	v_cmp_eq_f32_e64 s[40:41], v22, 0                          // 0000000075C0: D0420028 00010116
	s_nop 1                                                    // 0000000075C8: BF800001
	v_rcp_f32_e32 v22, v22                                     // 0000000075CC: 7E2C4516
	s_nop 1                                                    // 0000000075D0: BF800001
	v_cndmask_b32_e64 v22, v22, 0, s[40:41]                    // 0000000075D4: D1000016 00A10116
	v_fma_f32 v2, v17, s45, v16                                // 0000000075DC: D1CB0002 04405B11
	v_mov_b32_e32 v23, v22                                     // 0000000075E4: 7E2E0316
	v_lshrrev_b32_e32 v16, 5, v0                               // 0000000075E8: 20200085
	v_mul_i32_i24_e32 v35, 0x42, v16                           // 0000000075EC: 0C4620FF 00000042
	v_and_b32_e32 v16, 31, v0                                  // 0000000075F4: 2620009F
	v_mul_i32_i24_e32 v16, 2, v16                              // 0000000075F8: 0C202082
	v_add_u32_e32 v35, v16, v35                                // 0000000075FC: 68464710
	s_mul_i32 s40, s5, 0x420                                   // 000000007600: 9228FF05 00000420
	v_add_u32_e32 v35, s40, v35                                // 000000007608: 68464628
	v_lshlrev_b32_e32 v35, 2, v35                              // 00000000760C: 24464682
	v_lshrrev_b32_e32 v16, 3, v0                               // 000000007610: 20200083
	v_mul_i32_i24_e32 v34, 2, v16                              // 000000007614: 0C442082
	v_and_b32_e32 v16, 7, v0                                   // 000000007618: 26200087
	v_mul_i32_i24_e32 v16, 0x84, v16                           // 00000000761C: 0C2020FF 00000084
	v_add_u32_e32 v34, v16, v34                                // 000000007624: 68444510
	s_mul_i32 s40, s5, 0x420                                   // 000000007628: 9228FF05 00000420
	v_add_u32_e32 v34, s40, v34                                // 000000007630: 68444428
	v_lshlrev_b32_e32 v34, 2, v34                              // 000000007634: 24444482
	s_waitcnt vmcnt(0) expcnt(0) lgkmcnt(0)                    // 000000007638: BF8C0000
	s_barrier                                                  // 00000000763C: BF8A0000
	v_pk_mul_f32 v[96:97], v[22:23], v[96:97]                  // 000000007640: D3B14060 1802C116
	v_pk_mul_f32 v[98:99], v[22:23], v[98:99]                  // 000000007648: D3B14062 1802C516
	v_pk_mul_f32 v[100:101], v[22:23], v[100:101]              // 000000007650: D3B14064 1802C916
	v_pk_mul_f32 v[102:103], v[22:23], v[102:103]              // 000000007658: D3B14066 1802CD16
	v_pk_mul_f32 v[104:105], v[22:23], v[104:105]              // 000000007660: D3B14068 1802D116
	v_pk_mul_f32 v[106:107], v[22:23], v[106:107]              // 000000007668: D3B1406A 1802D516
	v_pk_mul_f32 v[108:109], v[22:23], v[108:109]              // 000000007670: D3B1406C 1802D916
	v_pk_mul_f32 v[110:111], v[22:23], v[110:111]              // 000000007678: D3B1406E 1802DD16
	v_pk_mul_f32 v[112:113], v[22:23], v[112:113]              // 000000007680: D3B14070 1802E116
	v_pk_mul_f32 v[114:115], v[22:23], v[114:115]              // 000000007688: D3B14072 1802E516
	v_pk_mul_f32 v[116:117], v[22:23], v[116:117]              // 000000007690: D3B14074 1802E916
	v_pk_mul_f32 v[118:119], v[22:23], v[118:119]              // 000000007698: D3B14076 1802ED16
	v_pk_mul_f32 v[120:121], v[22:23], v[120:121]              // 0000000076A0: D3B14078 1802F116
	v_pk_mul_f32 v[122:123], v[22:23], v[122:123]              // 0000000076A8: D3B1407A 1802F516
	v_pk_mul_f32 v[124:125], v[22:23], v[124:125]              // 0000000076B0: D3B1407C 1802F916
	v_pk_mul_f32 v[126:127], v[22:23], v[126:127]              // 0000000076B8: D3B1407E 1802FD16
	v_cmp_u_f32_e64 s[70:71], v96, v96                         // 0000000076C0: D0480046 0002C160
	v_bfe_u32 v40, v96, 16, 1                                  // 0000000076C8: D1C80028 02052160
	v_add3_u32 v40, v96, v40, v43                              // 0000000076D0: D1FF0028 04AE5160
	v_cndmask_b32_e64 v16, v40, v42, s[70:71]                  // 0000000076D8: D1000010 011A5528
	v_lshrrev_b32_e32 v16, 16, v16                             // 0000000076E0: 20202090
	v_cmp_u_f32_e64 s[70:71], v97, v97                         // 0000000076E4: D0480046 0002C361
	v_bfe_u32 v40, v97, 16, 1                                  // 0000000076EC: D1C80028 02052161
	v_add3_u32 v40, v97, v40, v43                              // 0000000076F4: D1FF0028 04AE5161
	v_cndmask_b32_e64 v17, v40, v42, s[70:71]                  // 0000000076FC: D1000011 011A5528
	v_and_or_b32 v96, v17, v41, v16                            // 000000007704: D2010060 04425311
	v_cmp_u_f32_e64 s[70:71], v98, v98                         // 00000000770C: D0480046 0002C562
	v_bfe_u32 v40, v98, 16, 1                                  // 000000007714: D1C80028 02052162
	v_add3_u32 v40, v98, v40, v43                              // 00000000771C: D1FF0028 04AE5162
	v_cndmask_b32_e64 v16, v40, v42, s[70:71]                  // 000000007724: D1000010 011A5528
	v_lshrrev_b32_e32 v16, 16, v16                             // 00000000772C: 20202090
	v_cmp_u_f32_e64 s[70:71], v99, v99                         // 000000007730: D0480046 0002C763
	v_bfe_u32 v40, v99, 16, 1                                  // 000000007738: D1C80028 02052163
	v_add3_u32 v40, v99, v40, v43                              // 000000007740: D1FF0028 04AE5163
	v_cndmask_b32_e64 v17, v40, v42, s[70:71]                  // 000000007748: D1000011 011A5528
	v_and_or_b32 v97, v17, v41, v16                            // 000000007750: D2010061 04425311
	v_cmp_u_f32_e64 s[70:71], v100, v100                       // 000000007758: D0480046 0002C964
	v_bfe_u32 v40, v100, 16, 1                                 // 000000007760: D1C80028 02052164
	v_add3_u32 v40, v100, v40, v43                             // 000000007768: D1FF0028 04AE5164
	v_cndmask_b32_e64 v16, v40, v42, s[70:71]                  // 000000007770: D1000010 011A5528
	v_lshrrev_b32_e32 v16, 16, v16                             // 000000007778: 20202090
	v_cmp_u_f32_e64 s[70:71], v101, v101                       // 00000000777C: D0480046 0002CB65
	v_bfe_u32 v40, v101, 16, 1                                 // 000000007784: D1C80028 02052165
	v_add3_u32 v40, v101, v40, v43                             // 00000000778C: D1FF0028 04AE5165
	v_cndmask_b32_e64 v17, v40, v42, s[70:71]                  // 000000007794: D1000011 011A5528
	v_and_or_b32 v98, v17, v41, v16                            // 00000000779C: D2010062 04425311
	v_cmp_u_f32_e64 s[70:71], v102, v102                       // 0000000077A4: D0480046 0002CD66
	v_bfe_u32 v40, v102, 16, 1                                 // 0000000077AC: D1C80028 02052166
	v_add3_u32 v40, v102, v40, v43                             // 0000000077B4: D1FF0028 04AE5166
	v_cndmask_b32_e64 v16, v40, v42, s[70:71]                  // 0000000077BC: D1000010 011A5528
	v_lshrrev_b32_e32 v16, 16, v16                             // 0000000077C4: 20202090
	v_cmp_u_f32_e64 s[70:71], v103, v103                       // 0000000077C8: D0480046 0002CF67
	v_bfe_u32 v40, v103, 16, 1                                 // 0000000077D0: D1C80028 02052167
	v_add3_u32 v40, v103, v40, v43                             // 0000000077D8: D1FF0028 04AE5167
	v_cndmask_b32_e64 v17, v40, v42, s[70:71]                  // 0000000077E0: D1000011 011A5528
	v_and_or_b32 v99, v17, v41, v16                            // 0000000077E8: D2010063 04425311
	v_cmp_u_f32_e64 s[70:71], v104, v104                       // 0000000077F0: D0480046 0002D168
	v_bfe_u32 v40, v104, 16, 1                                 // 0000000077F8: D1C80028 02052168
	v_add3_u32 v40, v104, v40, v43                             // 000000007800: D1FF0028 04AE5168
	v_cndmask_b32_e64 v16, v40, v42, s[70:71]                  // 000000007808: D1000010 011A5528
	v_lshrrev_b32_e32 v16, 16, v16                             // 000000007810: 20202090
	v_cmp_u_f32_e64 s[70:71], v105, v105                       // 000000007814: D0480046 0002D369
	v_bfe_u32 v40, v105, 16, 1                                 // 00000000781C: D1C80028 02052169
	v_add3_u32 v40, v105, v40, v43                             // 000000007824: D1FF0028 04AE5169
	v_cndmask_b32_e64 v17, v40, v42, s[70:71]                  // 00000000782C: D1000011 011A5528
	v_and_or_b32 v100, v17, v41, v16                           // 000000007834: D2010064 04425311
	v_cmp_u_f32_e64 s[70:71], v106, v106                       // 00000000783C: D0480046 0002D56A
	v_bfe_u32 v40, v106, 16, 1                                 // 000000007844: D1C80028 0205216A
	v_add3_u32 v40, v106, v40, v43                             // 00000000784C: D1FF0028 04AE516A
	v_cndmask_b32_e64 v16, v40, v42, s[70:71]                  // 000000007854: D1000010 011A5528
	v_lshrrev_b32_e32 v16, 16, v16                             // 00000000785C: 20202090
	v_cmp_u_f32_e64 s[70:71], v107, v107                       // 000000007860: D0480046 0002D76B
	v_bfe_u32 v40, v107, 16, 1                                 // 000000007868: D1C80028 0205216B
	v_add3_u32 v40, v107, v40, v43                             // 000000007870: D1FF0028 04AE516B
	v_cndmask_b32_e64 v17, v40, v42, s[70:71]                  // 000000007878: D1000011 011A5528
	v_and_or_b32 v101, v17, v41, v16                           // 000000007880: D2010065 04425311
	v_cmp_u_f32_e64 s[70:71], v108, v108                       // 000000007888: D0480046 0002D96C
	v_bfe_u32 v40, v108, 16, 1                                 // 000000007890: D1C80028 0205216C
	v_add3_u32 v40, v108, v40, v43                             // 000000007898: D1FF0028 04AE516C
	v_cndmask_b32_e64 v16, v40, v42, s[70:71]                  // 0000000078A0: D1000010 011A5528
	v_lshrrev_b32_e32 v16, 16, v16                             // 0000000078A8: 20202090
	v_cmp_u_f32_e64 s[70:71], v109, v109                       // 0000000078AC: D0480046 0002DB6D
	v_bfe_u32 v40, v109, 16, 1                                 // 0000000078B4: D1C80028 0205216D
	v_add3_u32 v40, v109, v40, v43                             // 0000000078BC: D1FF0028 04AE516D
	v_cndmask_b32_e64 v17, v40, v42, s[70:71]                  // 0000000078C4: D1000011 011A5528
	v_and_or_b32 v102, v17, v41, v16                           // 0000000078CC: D2010066 04425311
	v_cmp_u_f32_e64 s[70:71], v110, v110                       // 0000000078D4: D0480046 0002DD6E
	v_bfe_u32 v40, v110, 16, 1                                 // 0000000078DC: D1C80028 0205216E
	v_add3_u32 v40, v110, v40, v43                             // 0000000078E4: D1FF0028 04AE516E
	v_cndmask_b32_e64 v16, v40, v42, s[70:71]                  // 0000000078EC: D1000010 011A5528
	v_lshrrev_b32_e32 v16, 16, v16                             // 0000000078F4: 20202090
	v_cmp_u_f32_e64 s[70:71], v111, v111                       // 0000000078F8: D0480046 0002DF6F
	v_bfe_u32 v40, v111, 16, 1                                 // 000000007900: D1C80028 0205216F
	v_add3_u32 v40, v111, v40, v43                             // 000000007908: D1FF0028 04AE516F
	v_cndmask_b32_e64 v17, v40, v42, s[70:71]                  // 000000007910: D1000011 011A5528
	v_and_or_b32 v103, v17, v41, v16                           // 000000007918: D2010067 04425311
	v_cmp_u_f32_e64 s[70:71], v112, v112                       // 000000007920: D0480046 0002E170
	v_bfe_u32 v40, v112, 16, 1                                 // 000000007928: D1C80028 02052170
	v_add3_u32 v40, v112, v40, v43                             // 000000007930: D1FF0028 04AE5170
	v_cndmask_b32_e64 v16, v40, v42, s[70:71]                  // 000000007938: D1000010 011A5528
	v_lshrrev_b32_e32 v16, 16, v16                             // 000000007940: 20202090
	v_cmp_u_f32_e64 s[70:71], v113, v113                       // 000000007944: D0480046 0002E371
	v_bfe_u32 v40, v113, 16, 1                                 // 00000000794C: D1C80028 02052171
	v_add3_u32 v40, v113, v40, v43                             // 000000007954: D1FF0028 04AE5171
	v_cndmask_b32_e64 v17, v40, v42, s[70:71]                  // 00000000795C: D1000011 011A5528
	v_and_or_b32 v104, v17, v41, v16                           // 000000007964: D2010068 04425311
	v_cmp_u_f32_e64 s[70:71], v114, v114                       // 00000000796C: D0480046 0002E572
	v_bfe_u32 v40, v114, 16, 1                                 // 000000007974: D1C80028 02052172
	v_add3_u32 v40, v114, v40, v43                             // 00000000797C: D1FF0028 04AE5172
	v_cndmask_b32_e64 v16, v40, v42, s[70:71]                  // 000000007984: D1000010 011A5528
	v_lshrrev_b32_e32 v16, 16, v16                             // 00000000798C: 20202090
	v_cmp_u_f32_e64 s[70:71], v115, v115                       // 000000007990: D0480046 0002E773
	v_bfe_u32 v40, v115, 16, 1                                 // 000000007998: D1C80028 02052173
	v_add3_u32 v40, v115, v40, v43                             // 0000000079A0: D1FF0028 04AE5173
	v_cndmask_b32_e64 v17, v40, v42, s[70:71]                  // 0000000079A8: D1000011 011A5528
	v_and_or_b32 v105, v17, v41, v16                           // 0000000079B0: D2010069 04425311
	v_cmp_u_f32_e64 s[70:71], v116, v116                       // 0000000079B8: D0480046 0002E974
	v_bfe_u32 v40, v116, 16, 1                                 // 0000000079C0: D1C80028 02052174
	v_add3_u32 v40, v116, v40, v43                             // 0000000079C8: D1FF0028 04AE5174
	v_cndmask_b32_e64 v16, v40, v42, s[70:71]                  // 0000000079D0: D1000010 011A5528
	v_lshrrev_b32_e32 v16, 16, v16                             // 0000000079D8: 20202090
	v_cmp_u_f32_e64 s[70:71], v117, v117                       // 0000000079DC: D0480046 0002EB75
	v_bfe_u32 v40, v117, 16, 1                                 // 0000000079E4: D1C80028 02052175
	v_add3_u32 v40, v117, v40, v43                             // 0000000079EC: D1FF0028 04AE5175
	v_cndmask_b32_e64 v17, v40, v42, s[70:71]                  // 0000000079F4: D1000011 011A5528
	v_and_or_b32 v106, v17, v41, v16                           // 0000000079FC: D201006A 04425311
	v_cmp_u_f32_e64 s[70:71], v118, v118                       // 000000007A04: D0480046 0002ED76
	v_bfe_u32 v40, v118, 16, 1                                 // 000000007A0C: D1C80028 02052176
	v_add3_u32 v40, v118, v40, v43                             // 000000007A14: D1FF0028 04AE5176
	v_cndmask_b32_e64 v16, v40, v42, s[70:71]                  // 000000007A1C: D1000010 011A5528
	v_lshrrev_b32_e32 v16, 16, v16                             // 000000007A24: 20202090
	v_cmp_u_f32_e64 s[70:71], v119, v119                       // 000000007A28: D0480046 0002EF77
	v_bfe_u32 v40, v119, 16, 1                                 // 000000007A30: D1C80028 02052177
	v_add3_u32 v40, v119, v40, v43                             // 000000007A38: D1FF0028 04AE5177
	v_cndmask_b32_e64 v17, v40, v42, s[70:71]                  // 000000007A40: D1000011 011A5528
	v_and_or_b32 v107, v17, v41, v16                           // 000000007A48: D201006B 04425311
	v_cmp_u_f32_e64 s[70:71], v120, v120                       // 000000007A50: D0480046 0002F178
	v_bfe_u32 v40, v120, 16, 1                                 // 000000007A58: D1C80028 02052178
	v_add3_u32 v40, v120, v40, v43                             // 000000007A60: D1FF0028 04AE5178
	v_cndmask_b32_e64 v16, v40, v42, s[70:71]                  // 000000007A68: D1000010 011A5528
	v_lshrrev_b32_e32 v16, 16, v16                             // 000000007A70: 20202090
	v_cmp_u_f32_e64 s[70:71], v121, v121                       // 000000007A74: D0480046 0002F379
	v_bfe_u32 v40, v121, 16, 1                                 // 000000007A7C: D1C80028 02052179
	v_add3_u32 v40, v121, v40, v43                             // 000000007A84: D1FF0028 04AE5179
	v_cndmask_b32_e64 v17, v40, v42, s[70:71]                  // 000000007A8C: D1000011 011A5528
	v_and_or_b32 v108, v17, v41, v16                           // 000000007A94: D201006C 04425311
	v_cmp_u_f32_e64 s[70:71], v122, v122                       // 000000007A9C: D0480046 0002F57A
	v_bfe_u32 v40, v122, 16, 1                                 // 000000007AA4: D1C80028 0205217A
	v_add3_u32 v40, v122, v40, v43                             // 000000007AAC: D1FF0028 04AE517A
	v_cndmask_b32_e64 v16, v40, v42, s[70:71]                  // 000000007AB4: D1000010 011A5528
	v_lshrrev_b32_e32 v16, 16, v16                             // 000000007ABC: 20202090
	v_cmp_u_f32_e64 s[70:71], v123, v123                       // 000000007AC0: D0480046 0002F77B
	v_bfe_u32 v40, v123, 16, 1                                 // 000000007AC8: D1C80028 0205217B
	v_add3_u32 v40, v123, v40, v43                             // 000000007AD0: D1FF0028 04AE517B
	v_cndmask_b32_e64 v17, v40, v42, s[70:71]                  // 000000007AD8: D1000011 011A5528
	v_and_or_b32 v109, v17, v41, v16                           // 000000007AE0: D201006D 04425311
	v_cmp_u_f32_e64 s[70:71], v124, v124                       // 000000007AE8: D0480046 0002F97C
	v_bfe_u32 v40, v124, 16, 1                                 // 000000007AF0: D1C80028 0205217C
	v_add3_u32 v40, v124, v40, v43                             // 000000007AF8: D1FF0028 04AE517C
	v_cndmask_b32_e64 v16, v40, v42, s[70:71]                  // 000000007B00: D1000010 011A5528
	v_lshrrev_b32_e32 v16, 16, v16                             // 000000007B08: 20202090
	v_cmp_u_f32_e64 s[70:71], v125, v125                       // 000000007B0C: D0480046 0002FB7D
	v_bfe_u32 v40, v125, 16, 1                                 // 000000007B14: D1C80028 0205217D
	v_add3_u32 v40, v125, v40, v43                             // 000000007B1C: D1FF0028 04AE517D
	v_cndmask_b32_e64 v17, v40, v42, s[70:71]                  // 000000007B24: D1000011 011A5528
	v_and_or_b32 v110, v17, v41, v16                           // 000000007B2C: D201006E 04425311
	v_cmp_u_f32_e64 s[70:71], v126, v126                       // 000000007B34: D0480046 0002FD7E
	v_bfe_u32 v40, v126, 16, 1                                 // 000000007B3C: D1C80028 0205217E
	v_add3_u32 v40, v126, v40, v43                             // 000000007B44: D1FF0028 04AE517E
	v_cndmask_b32_e64 v16, v40, v42, s[70:71]                  // 000000007B4C: D1000010 011A5528
	v_lshrrev_b32_e32 v16, 16, v16                             // 000000007B54: 20202090
	v_cmp_u_f32_e64 s[70:71], v127, v127                       // 000000007B58: D0480046 0002FF7F
	v_bfe_u32 v40, v127, 16, 1                                 // 000000007B60: D1C80028 0205217F
	v_add3_u32 v40, v127, v40, v43                             // 000000007B68: D1FF0028 04AE517F
	v_cndmask_b32_e64 v17, v40, v42, s[70:71]                  // 000000007B70: D1000011 011A5528
	v_and_or_b32 v111, v17, v41, v16                           // 000000007B78: D201006F 04425311
	ds_write_b64 v35, v[96:97]                                 // 000000007B80: D89A0000 00006023
	ds_write_b64 v35, v[98:99] offset:528                      // 000000007B88: D89A0210 00006223
	ds_write_b64 v35, v[100:101] offset:1056                   // 000000007B90: D89A0420 00006423
	ds_write_b64 v35, v[102:103] offset:1584                   // 000000007B98: D89A0630 00006623
	ds_write_b64 v35, v[104:105] offset:2112                   // 000000007BA0: D89A0840 00006823
	ds_write_b64 v35, v[106:107] offset:2640                   // 000000007BA8: D89A0A50 00006A23
	ds_write_b64 v35, v[108:109] offset:3168                   // 000000007BB0: D89A0C60 00006C23
	ds_write_b64 v35, v[110:111] offset:3696                   // 000000007BB8: D89A0E70 00006E23
	s_waitcnt vmcnt(0) expcnt(0) lgkmcnt(0)                    // 000000007BC0: BF8C0000
	ds_read_b64 v[96:97], v34                                  // 000000007BC4: D8EC0000 60000022
	ds_read_b64 v[98:99], v34 offset:264                       // 000000007BCC: D8EC0108 62000022
	ds_read_b64 v[100:101], v34 offset:64                      // 000000007BD4: D8EC0040 64000022
	ds_read_b64 v[102:103], v34 offset:328                     // 000000007BDC: D8EC0148 66000022
	ds_read_b64 v[104:105], v34 offset:128                     // 000000007BE4: D8EC0080 68000022
	ds_read_b64 v[106:107], v34 offset:392                     // 000000007BEC: D8EC0188 6A000022
	ds_read_b64 v[108:109], v34 offset:192                     // 000000007BF4: D8EC00C0 6C000022
	ds_read_b64 v[110:111], v34 offset:456                     // 000000007BFC: D8EC01C8 6E000022
	s_waitcnt vmcnt(0) expcnt(0) lgkmcnt(0)                    // 000000007C04: BF8C0000
	buffer_store_dwordx4 v[96:99], v8, s[20:23], 0 offen       // 000000007C08: E07C1000 80056008
	buffer_store_dwordx4 v[100:103], v9, s[20:23], 0 offen     // 000000007C10: E07C1000 80056409
	buffer_store_dwordx4 v[104:107], v10, s[20:23], 0 offen    // 000000007C18: E07C1000 8005680A
	buffer_store_dwordx4 v[108:111], v11, s[20:23], 0 offen    // 000000007C20: E07C1000 80056C0B
	v_pk_mul_f32 v[128:129], v[22:23], v[128:129]              // 000000007C28: D3B14080 18030116
	v_pk_mul_f32 v[130:131], v[22:23], v[130:131]              // 000000007C30: D3B14082 18030516
	v_pk_mul_f32 v[132:133], v[22:23], v[132:133]              // 000000007C38: D3B14084 18030916
	v_pk_mul_f32 v[134:135], v[22:23], v[134:135]              // 000000007C40: D3B14086 18030D16
	v_pk_mul_f32 v[136:137], v[22:23], v[136:137]              // 000000007C48: D3B14088 18031116
	v_pk_mul_f32 v[138:139], v[22:23], v[138:139]              // 000000007C50: D3B1408A 18031516
	v_pk_mul_f32 v[140:141], v[22:23], v[140:141]              // 000000007C58: D3B1408C 18031916
	v_pk_mul_f32 v[142:143], v[22:23], v[142:143]              // 000000007C60: D3B1408E 18031D16
	v_pk_mul_f32 v[144:145], v[22:23], v[144:145]              // 000000007C68: D3B14090 18032116
	v_pk_mul_f32 v[146:147], v[22:23], v[146:147]              // 000000007C70: D3B14092 18032516
	v_pk_mul_f32 v[148:149], v[22:23], v[148:149]              // 000000007C78: D3B14094 18032916
	v_pk_mul_f32 v[150:151], v[22:23], v[150:151]              // 000000007C80: D3B14096 18032D16
	v_pk_mul_f32 v[152:153], v[22:23], v[152:153]              // 000000007C88: D3B14098 18033116
	v_pk_mul_f32 v[154:155], v[22:23], v[154:155]              // 000000007C90: D3B1409A 18033516
	v_pk_mul_f32 v[156:157], v[22:23], v[156:157]              // 000000007C98: D3B1409C 18033916
	v_pk_mul_f32 v[158:159], v[22:23], v[158:159]              // 000000007CA0: D3B1409E 18033D16
	v_cmp_u_f32_e64 s[70:71], v128, v128                       // 000000007CA8: D0480046 00030180
	v_bfe_u32 v40, v128, 16, 1                                 // 000000007CB0: D1C80028 02052180
	v_add3_u32 v40, v128, v40, v43                             // 000000007CB8: D1FF0028 04AE5180
	v_cndmask_b32_e64 v16, v40, v42, s[70:71]                  // 000000007CC0: D1000010 011A5528
	v_lshrrev_b32_e32 v16, 16, v16                             // 000000007CC8: 20202090
	v_cmp_u_f32_e64 s[70:71], v129, v129                       // 000000007CCC: D0480046 00030381
	v_bfe_u32 v40, v129, 16, 1                                 // 000000007CD4: D1C80028 02052181
	v_add3_u32 v40, v129, v40, v43                             // 000000007CDC: D1FF0028 04AE5181
	v_cndmask_b32_e64 v17, v40, v42, s[70:71]                  // 000000007CE4: D1000011 011A5528
	v_and_or_b32 v128, v17, v41, v16                           // 000000007CEC: D2010080 04425311
	v_cmp_u_f32_e64 s[70:71], v130, v130                       // 000000007CF4: D0480046 00030582
	v_bfe_u32 v40, v130, 16, 1                                 // 000000007CFC: D1C80028 02052182
	v_add3_u32 v40, v130, v40, v43                             // 000000007D04: D1FF0028 04AE5182
	v_cndmask_b32_e64 v16, v40, v42, s[70:71]                  // 000000007D0C: D1000010 011A5528
	v_lshrrev_b32_e32 v16, 16, v16                             // 000000007D14: 20202090
	v_cmp_u_f32_e64 s[70:71], v131, v131                       // 000000007D18: D0480046 00030783
	v_bfe_u32 v40, v131, 16, 1                                 // 000000007D20: D1C80028 02052183
	v_add3_u32 v40, v131, v40, v43                             // 000000007D28: D1FF0028 04AE5183
	v_cndmask_b32_e64 v17, v40, v42, s[70:71]                  // 000000007D30: D1000011 011A5528
	v_and_or_b32 v129, v17, v41, v16                           // 000000007D38: D2010081 04425311
	v_cmp_u_f32_e64 s[70:71], v132, v132                       // 000000007D40: D0480046 00030984
	v_bfe_u32 v40, v132, 16, 1                                 // 000000007D48: D1C80028 02052184
	v_add3_u32 v40, v132, v40, v43                             // 000000007D50: D1FF0028 04AE5184
	v_cndmask_b32_e64 v16, v40, v42, s[70:71]                  // 000000007D58: D1000010 011A5528
	v_lshrrev_b32_e32 v16, 16, v16                             // 000000007D60: 20202090
	v_cmp_u_f32_e64 s[70:71], v133, v133                       // 000000007D64: D0480046 00030B85
	v_bfe_u32 v40, v133, 16, 1                                 // 000000007D6C: D1C80028 02052185
	v_add3_u32 v40, v133, v40, v43                             // 000000007D74: D1FF0028 04AE5185
	v_cndmask_b32_e64 v17, v40, v42, s[70:71]                  // 000000007D7C: D1000011 011A5528
	v_and_or_b32 v130, v17, v41, v16                           // 000000007D84: D2010082 04425311
	v_cmp_u_f32_e64 s[70:71], v134, v134                       // 000000007D8C: D0480046 00030D86
	v_bfe_u32 v40, v134, 16, 1                                 // 000000007D94: D1C80028 02052186
	v_add3_u32 v40, v134, v40, v43                             // 000000007D9C: D1FF0028 04AE5186
	v_cndmask_b32_e64 v16, v40, v42, s[70:71]                  // 000000007DA4: D1000010 011A5528
	v_lshrrev_b32_e32 v16, 16, v16                             // 000000007DAC: 20202090
	v_cmp_u_f32_e64 s[70:71], v135, v135                       // 000000007DB0: D0480046 00030F87
	v_bfe_u32 v40, v135, 16, 1                                 // 000000007DB8: D1C80028 02052187
	v_add3_u32 v40, v135, v40, v43                             // 000000007DC0: D1FF0028 04AE5187
	v_cndmask_b32_e64 v17, v40, v42, s[70:71]                  // 000000007DC8: D1000011 011A5528
	v_and_or_b32 v131, v17, v41, v16                           // 000000007DD0: D2010083 04425311
	v_cmp_u_f32_e64 s[70:71], v136, v136                       // 000000007DD8: D0480046 00031188
	v_bfe_u32 v40, v136, 16, 1                                 // 000000007DE0: D1C80028 02052188
	v_add3_u32 v40, v136, v40, v43                             // 000000007DE8: D1FF0028 04AE5188
	v_cndmask_b32_e64 v16, v40, v42, s[70:71]                  // 000000007DF0: D1000010 011A5528
	v_lshrrev_b32_e32 v16, 16, v16                             // 000000007DF8: 20202090
	v_cmp_u_f32_e64 s[70:71], v137, v137                       // 000000007DFC: D0480046 00031389
	v_bfe_u32 v40, v137, 16, 1                                 // 000000007E04: D1C80028 02052189
	v_add3_u32 v40, v137, v40, v43                             // 000000007E0C: D1FF0028 04AE5189
	v_cndmask_b32_e64 v17, v40, v42, s[70:71]                  // 000000007E14: D1000011 011A5528
	v_and_or_b32 v132, v17, v41, v16                           // 000000007E1C: D2010084 04425311
	v_cmp_u_f32_e64 s[70:71], v138, v138                       // 000000007E24: D0480046 0003158A
	v_bfe_u32 v40, v138, 16, 1                                 // 000000007E2C: D1C80028 0205218A
	v_add3_u32 v40, v138, v40, v43                             // 000000007E34: D1FF0028 04AE518A
	v_cndmask_b32_e64 v16, v40, v42, s[70:71]                  // 000000007E3C: D1000010 011A5528
	v_lshrrev_b32_e32 v16, 16, v16                             // 000000007E44: 20202090
	v_cmp_u_f32_e64 s[70:71], v139, v139                       // 000000007E48: D0480046 0003178B
	v_bfe_u32 v40, v139, 16, 1                                 // 000000007E50: D1C80028 0205218B
	v_add3_u32 v40, v139, v40, v43                             // 000000007E58: D1FF0028 04AE518B
	v_cndmask_b32_e64 v17, v40, v42, s[70:71]                  // 000000007E60: D1000011 011A5528
	v_and_or_b32 v133, v17, v41, v16                           // 000000007E68: D2010085 04425311
	v_cmp_u_f32_e64 s[70:71], v140, v140                       // 000000007E70: D0480046 0003198C
	v_bfe_u32 v40, v140, 16, 1                                 // 000000007E78: D1C80028 0205218C
	v_add3_u32 v40, v140, v40, v43                             // 000000007E80: D1FF0028 04AE518C
	v_cndmask_b32_e64 v16, v40, v42, s[70:71]                  // 000000007E88: D1000010 011A5528
	v_lshrrev_b32_e32 v16, 16, v16                             // 000000007E90: 20202090
	v_cmp_u_f32_e64 s[70:71], v141, v141                       // 000000007E94: D0480046 00031B8D
	v_bfe_u32 v40, v141, 16, 1                                 // 000000007E9C: D1C80028 0205218D
	v_add3_u32 v40, v141, v40, v43                             // 000000007EA4: D1FF0028 04AE518D
	v_cndmask_b32_e64 v17, v40, v42, s[70:71]                  // 000000007EAC: D1000011 011A5528
	v_and_or_b32 v134, v17, v41, v16                           // 000000007EB4: D2010086 04425311
	v_cmp_u_f32_e64 s[70:71], v142, v142                       // 000000007EBC: D0480046 00031D8E
	v_bfe_u32 v40, v142, 16, 1                                 // 000000007EC4: D1C80028 0205218E
	v_add3_u32 v40, v142, v40, v43                             // 000000007ECC: D1FF0028 04AE518E
	v_cndmask_b32_e64 v16, v40, v42, s[70:71]                  // 000000007ED4: D1000010 011A5528
	v_lshrrev_b32_e32 v16, 16, v16                             // 000000007EDC: 20202090
	v_cmp_u_f32_e64 s[70:71], v143, v143                       // 000000007EE0: D0480046 00031F8F
	v_bfe_u32 v40, v143, 16, 1                                 // 000000007EE8: D1C80028 0205218F
	v_add3_u32 v40, v143, v40, v43                             // 000000007EF0: D1FF0028 04AE518F
	v_cndmask_b32_e64 v17, v40, v42, s[70:71]                  // 000000007EF8: D1000011 011A5528
	v_and_or_b32 v135, v17, v41, v16                           // 000000007F00: D2010087 04425311
	v_cmp_u_f32_e64 s[70:71], v144, v144                       // 000000007F08: D0480046 00032190
	v_bfe_u32 v40, v144, 16, 1                                 // 000000007F10: D1C80028 02052190
	v_add3_u32 v40, v144, v40, v43                             // 000000007F18: D1FF0028 04AE5190
	v_cndmask_b32_e64 v16, v40, v42, s[70:71]                  // 000000007F20: D1000010 011A5528
	v_lshrrev_b32_e32 v16, 16, v16                             // 000000007F28: 20202090
	v_cmp_u_f32_e64 s[70:71], v145, v145                       // 000000007F2C: D0480046 00032391
	v_bfe_u32 v40, v145, 16, 1                                 // 000000007F34: D1C80028 02052191
	v_add3_u32 v40, v145, v40, v43                             // 000000007F3C: D1FF0028 04AE5191
	v_cndmask_b32_e64 v17, v40, v42, s[70:71]                  // 000000007F44: D1000011 011A5528
	v_and_or_b32 v136, v17, v41, v16                           // 000000007F4C: D2010088 04425311
	v_cmp_u_f32_e64 s[70:71], v146, v146                       // 000000007F54: D0480046 00032592
	v_bfe_u32 v40, v146, 16, 1                                 // 000000007F5C: D1C80028 02052192
	v_add3_u32 v40, v146, v40, v43                             // 000000007F64: D1FF0028 04AE5192
	v_cndmask_b32_e64 v16, v40, v42, s[70:71]                  // 000000007F6C: D1000010 011A5528
	v_lshrrev_b32_e32 v16, 16, v16                             // 000000007F74: 20202090
	v_cmp_u_f32_e64 s[70:71], v147, v147                       // 000000007F78: D0480046 00032793
	v_bfe_u32 v40, v147, 16, 1                                 // 000000007F80: D1C80028 02052193
	v_add3_u32 v40, v147, v40, v43                             // 000000007F88: D1FF0028 04AE5193
	v_cndmask_b32_e64 v17, v40, v42, s[70:71]                  // 000000007F90: D1000011 011A5528
	v_and_or_b32 v137, v17, v41, v16                           // 000000007F98: D2010089 04425311
	v_cmp_u_f32_e64 s[70:71], v148, v148                       // 000000007FA0: D0480046 00032994
	v_bfe_u32 v40, v148, 16, 1                                 // 000000007FA8: D1C80028 02052194
	v_add3_u32 v40, v148, v40, v43                             // 000000007FB0: D1FF0028 04AE5194
	v_cndmask_b32_e64 v16, v40, v42, s[70:71]                  // 000000007FB8: D1000010 011A5528
	v_lshrrev_b32_e32 v16, 16, v16                             // 000000007FC0: 20202090
	v_cmp_u_f32_e64 s[70:71], v149, v149                       // 000000007FC4: D0480046 00032B95
	v_bfe_u32 v40, v149, 16, 1                                 // 000000007FCC: D1C80028 02052195
	v_add3_u32 v40, v149, v40, v43                             // 000000007FD4: D1FF0028 04AE5195
	v_cndmask_b32_e64 v17, v40, v42, s[70:71]                  // 000000007FDC: D1000011 011A5528
	v_and_or_b32 v138, v17, v41, v16                           // 000000007FE4: D201008A 04425311
	v_cmp_u_f32_e64 s[70:71], v150, v150                       // 000000007FEC: D0480046 00032D96
	v_bfe_u32 v40, v150, 16, 1                                 // 000000007FF4: D1C80028 02052196
	v_add3_u32 v40, v150, v40, v43                             // 000000007FFC: D1FF0028 04AE5196
	v_cndmask_b32_e64 v16, v40, v42, s[70:71]                  // 000000008004: D1000010 011A5528
	v_lshrrev_b32_e32 v16, 16, v16                             // 00000000800C: 20202090
	v_cmp_u_f32_e64 s[70:71], v151, v151                       // 000000008010: D0480046 00032F97
	v_bfe_u32 v40, v151, 16, 1                                 // 000000008018: D1C80028 02052197
	v_add3_u32 v40, v151, v40, v43                             // 000000008020: D1FF0028 04AE5197
	v_cndmask_b32_e64 v17, v40, v42, s[70:71]                  // 000000008028: D1000011 011A5528
	v_and_or_b32 v139, v17, v41, v16                           // 000000008030: D201008B 04425311
	v_cmp_u_f32_e64 s[70:71], v152, v152                       // 000000008038: D0480046 00033198
	v_bfe_u32 v40, v152, 16, 1                                 // 000000008040: D1C80028 02052198
	v_add3_u32 v40, v152, v40, v43                             // 000000008048: D1FF0028 04AE5198
	v_cndmask_b32_e64 v16, v40, v42, s[70:71]                  // 000000008050: D1000010 011A5528
	v_lshrrev_b32_e32 v16, 16, v16                             // 000000008058: 20202090
	v_cmp_u_f32_e64 s[70:71], v153, v153                       // 00000000805C: D0480046 00033399
	v_bfe_u32 v40, v153, 16, 1                                 // 000000008064: D1C80028 02052199
	v_add3_u32 v40, v153, v40, v43                             // 00000000806C: D1FF0028 04AE5199
	v_cndmask_b32_e64 v17, v40, v42, s[70:71]                  // 000000008074: D1000011 011A5528
	v_and_or_b32 v140, v17, v41, v16                           // 00000000807C: D201008C 04425311
	v_cmp_u_f32_e64 s[70:71], v154, v154                       // 000000008084: D0480046 0003359A
	v_bfe_u32 v40, v154, 16, 1                                 // 00000000808C: D1C80028 0205219A
	v_add3_u32 v40, v154, v40, v43                             // 000000008094: D1FF0028 04AE519A
	v_cndmask_b32_e64 v16, v40, v42, s[70:71]                  // 00000000809C: D1000010 011A5528
	v_lshrrev_b32_e32 v16, 16, v16                             // 0000000080A4: 20202090
	v_cmp_u_f32_e64 s[70:71], v155, v155                       // 0000000080A8: D0480046 0003379B
	v_bfe_u32 v40, v155, 16, 1                                 // 0000000080B0: D1C80028 0205219B
	v_add3_u32 v40, v155, v40, v43                             // 0000000080B8: D1FF0028 04AE519B
	v_cndmask_b32_e64 v17, v40, v42, s[70:71]                  // 0000000080C0: D1000011 011A5528
	v_and_or_b32 v141, v17, v41, v16                           // 0000000080C8: D201008D 04425311
	v_cmp_u_f32_e64 s[70:71], v156, v156                       // 0000000080D0: D0480046 0003399C
	v_bfe_u32 v40, v156, 16, 1                                 // 0000000080D8: D1C80028 0205219C
	v_add3_u32 v40, v156, v40, v43                             // 0000000080E0: D1FF0028 04AE519C
	v_cndmask_b32_e64 v16, v40, v42, s[70:71]                  // 0000000080E8: D1000010 011A5528
	v_lshrrev_b32_e32 v16, 16, v16                             // 0000000080F0: 20202090
	v_cmp_u_f32_e64 s[70:71], v157, v157                       // 0000000080F4: D0480046 00033B9D
	v_bfe_u32 v40, v157, 16, 1                                 // 0000000080FC: D1C80028 0205219D
	v_add3_u32 v40, v157, v40, v43                             // 000000008104: D1FF0028 04AE519D
	v_cndmask_b32_e64 v17, v40, v42, s[70:71]                  // 00000000810C: D1000011 011A5528
	v_and_or_b32 v142, v17, v41, v16                           // 000000008114: D201008E 04425311
	v_cmp_u_f32_e64 s[70:71], v158, v158                       // 00000000811C: D0480046 00033D9E
	v_bfe_u32 v40, v158, 16, 1                                 // 000000008124: D1C80028 0205219E
	v_add3_u32 v40, v158, v40, v43                             // 00000000812C: D1FF0028 04AE519E
	v_cndmask_b32_e64 v16, v40, v42, s[70:71]                  // 000000008134: D1000010 011A5528
	v_lshrrev_b32_e32 v16, 16, v16                             // 00000000813C: 20202090
	v_cmp_u_f32_e64 s[70:71], v159, v159                       // 000000008140: D0480046 00033F9F
	v_bfe_u32 v40, v159, 16, 1                                 // 000000008148: D1C80028 0205219F
	v_add3_u32 v40, v159, v40, v43                             // 000000008150: D1FF0028 04AE519F
	v_cndmask_b32_e64 v17, v40, v42, s[70:71]                  // 000000008158: D1000011 011A5528
	v_and_or_b32 v143, v17, v41, v16                           // 000000008160: D201008F 04425311
	ds_write_b64 v35, v[128:129]                               // 000000008168: D89A0000 00008023
	ds_write_b64 v35, v[130:131] offset:528                    // 000000008170: D89A0210 00008223
	ds_write_b64 v35, v[132:133] offset:1056                   // 000000008178: D89A0420 00008423
	ds_write_b64 v35, v[134:135] offset:1584                   // 000000008180: D89A0630 00008623
	ds_write_b64 v35, v[136:137] offset:2112                   // 000000008188: D89A0840 00008823
	ds_write_b64 v35, v[138:139] offset:2640                   // 000000008190: D89A0A50 00008A23
	ds_write_b64 v35, v[140:141] offset:3168                   // 000000008198: D89A0C60 00008C23
	ds_write_b64 v35, v[142:143] offset:3696                   // 0000000081A0: D89A0E70 00008E23
	s_waitcnt vmcnt(0) expcnt(0) lgkmcnt(0)                    // 0000000081A8: BF8C0000
	ds_read_b64 v[128:129], v34                                // 0000000081AC: D8EC0000 80000022
	ds_read_b64 v[130:131], v34 offset:264                     // 0000000081B4: D8EC0108 82000022
	ds_read_b64 v[132:133], v34 offset:64                      // 0000000081BC: D8EC0040 84000022
	ds_read_b64 v[134:135], v34 offset:328                     // 0000000081C4: D8EC0148 86000022
	ds_read_b64 v[136:137], v34 offset:128                     // 0000000081CC: D8EC0080 88000022
	ds_read_b64 v[138:139], v34 offset:392                     // 0000000081D4: D8EC0188 8A000022
	ds_read_b64 v[140:141], v34 offset:192                     // 0000000081DC: D8EC00C0 8C000022
	ds_read_b64 v[142:143], v34 offset:456                     // 0000000081E4: D8EC01C8 8E000022
	s_waitcnt vmcnt(0) expcnt(0) lgkmcnt(0)                    // 0000000081EC: BF8C0000
	buffer_store_dwordx4 v[128:131], v8, s[20:23], 0 offen offset:128// 0000000081F0: E07C1080 80058008
	buffer_store_dwordx4 v[132:135], v9, s[20:23], 0 offen offset:128// 0000000081F8: E07C1080 80058409
	buffer_store_dwordx4 v[136:139], v10, s[20:23], 0 offen offset:128// 000000008200: E07C1080 8005880A
	buffer_store_dwordx4 v[140:143], v11, s[20:23], 0 offen offset:128// 000000008208: E07C1080 80058C0B
	s_cmp_eq_u32 s37, 0                                        // 000000008210: BF068025
	s_cbranch_scc1 label_13CC                                  // 000000008214: BF850006
	v_cmp_ge_f32_e64 s[40:41], v2, v31                         // 000000008218: D0460028 00023F02
	v_cndmask_b32_e64 v2, v31, v2, s[40:41]                    // 000000008220: D1000002 00A2051F
	buffer_store_dword v2, v3, s[24:27], 0 offen               // 000000008228: E0701000 80060203

0000000000008230 <label_13CC>:
	s_waitcnt vmcnt(0) expcnt(0) lgkmcnt(0)                    // 000000008230: BF8C0000
	s_barrier                                                  // 000000008234: BF8A0000
	s_addk_i32 s36, 0x1                                        // 000000008238: B7240001
	s_add_u32 s40, s30, 0xff                                   // 00000000823C: 8028FF1E 000000FF
	s_lshr_b32 s40, s40, 8                                     // 000000008244: 8F288828
	s_cmp_lt_u32 s40, 2                                        // 000000008248: BF0A8228
	s_cselect_b32 s36, 2, s36                                  // 00000000824C: 85242482
	s_add_u32 s41, s30, 0xff                                   // 000000008250: 8029FF1E 000000FF
	s_lshr_b32 s40, s41, 8                                     // 000000008258: 8F288829
	s_sub_u32 s40, s40, 1                                      // 00000000825C: 80A88128
	s_sub_u32 s4, s40, s4                                      // 000000008260: 80840428
	s_mul_i32 s43, 32, s61                                     // 000000008264: 922B3DA0
	s_mul_i32 s44, 32, s80                                     // 000000008268: 922C50A0
	s_and_b32 s42, 1, s34                                      // 00000000826C: 862A2281
	s_cmp_lt_i32 s42, 1                                        // 000000008270: BF04812A
	s_cbranch_scc1 label_13F1                                  // 000000008274: BF850013
	s_lshl_b32 s40, s4, 3                                      // 000000008278: 8E288304
	s_add_u32 s40, s40, 7                                      // 00000000827C: 80288728
	s_sub_i32 s41, s7, s30                                     // 000000008280: 81A91E07
	s_addk_i32 s41, 0x1f                                       // 000000008284: B729001F
	s_ashr_i32 s41, s41, 5                                     // 000000008288: 90298529
	s_add_i32 s40, s40, s41                                    // 00000000828C: 81282928
	s_sub_u32 s41, s7, 1                                       // 000000008290: 80A98107
	s_lshr_b32 s41, s41, 5                                     // 000000008294: 8F298529
	s_cmp_lt_i32 s40, s41                                      // 000000008298: BF042928
	s_cselect_b32 s40, s40, s41                                // 00000000829C: 85282928
	s_cmp_lt_i32 s40, 0                                        // 0000000082A0: BF048028
	s_cselect_b32 s40, 0, s40                                  // 0000000082A4: 85282880
	s_mul_i32 s60, s40, s43                                    // 0000000082A8: 923C2B28
	s_mul_i32 s35, s40, s44                                    // 0000000082AC: 92232C28
	s_mul_i32 s52, s40, 32                                     // 0000000082B0: 9234A028
	s_sub_i32 s44, 0, s44                                      // 0000000082B4: 81AC2C80
	s_sub_i32 s43, 0, s43                                      // 0000000082B8: 81AB2B80
	s_sub_i32 s53, 0, s53                                      // 0000000082BC: 81B53580
	s_branch label_13F5                                        // 0000000082C0: BF820004

00000000000082c4 <label_13F1>:
	s_mov_b32 s60, 0                                           // 0000000082C4: BEBC0080
	s_mov_b32 s35, 0                                           // 0000000082C8: BEA30080
	s_mov_b32 s52, 0                                           // 0000000082CC: BEB40080
	s_mov_b32 s53, 32                                          // 0000000082D0: BEB500A0

00000000000082d4 <label_13F5>:
	s_cmp_lt_i32 s36, 2                                        // 0000000082D4: BF048224
	s_cbranch_scc1 label_0116                                  // 0000000082D8: BF85ED1F

00000000000082dc <label_13F7>:
	s_waitcnt vmcnt(0) expcnt(0) lgkmcnt(0)                    // 0000000082DC: BF8C0000
	s_endpgm                                                   // 0000000082E0: BF810000
